;; amdgpu-corpus repo=ROCm/rocFFT kind=compiled arch=gfx1201 opt=O3
	.text
	.amdgcn_target "amdgcn-amd-amdhsa--gfx1201"
	.amdhsa_code_object_version 6
	.protected	bluestein_single_back_len3456_dim1_sp_op_CI_CI ; -- Begin function bluestein_single_back_len3456_dim1_sp_op_CI_CI
	.globl	bluestein_single_back_len3456_dim1_sp_op_CI_CI
	.p2align	8
	.type	bluestein_single_back_len3456_dim1_sp_op_CI_CI,@function
bluestein_single_back_len3456_dim1_sp_op_CI_CI: ; @bluestein_single_back_len3456_dim1_sp_op_CI_CI
; %bb.0:
	s_load_b128 s[16:19], s[0:1], 0x28
	v_mul_u32_u24_e32 v1, 0x1c8, v0
	s_mov_b32 s2, exec_lo
	v_mov_b32_e32 v3, 0
	s_delay_alu instid0(VALU_DEP_2) | instskip(NEXT) | instid1(VALU_DEP_1)
	v_lshrrev_b32_e32 v1, 16, v1
	v_add_nc_u32_e32 v2, ttmp9, v1
	s_wait_kmcnt 0x0
	s_delay_alu instid0(VALU_DEP_1)
	v_cmpx_gt_u64_e64 s[16:17], v[2:3]
	s_cbranch_execz .LBB0_2
; %bb.1:
	s_clause 0x1
	s_load_b128 s[4:7], s[0:1], 0x18
	s_load_b128 s[8:11], s[0:1], 0x0
	v_mul_lo_u16 v1, 0x90, v1
	s_movk_i32 s2, 0xaa80
	s_mov_b32 s3, -1
	s_load_b64 s[0:1], s[0:1], 0x38
	v_mov_b32_e32 v6, v2
	v_sub_nc_u16 v90, v0, v1
	scratch_store_b64 off, v[6:7], off offset:12 ; 8-byte Folded Spill
	v_and_b32_e32 v11, 0xffff, v90
	s_delay_alu instid0(VALU_DEP_1)
	v_or_b32_e32 v9, 0x900, v11
	v_lshlrev_b32_e32 v203, 3, v11
	s_wait_kmcnt 0x0
	s_load_b128 s[12:15], s[4:5], 0x0
	scratch_store_b32 off, v9, off          ; 4-byte Folded Spill
	s_wait_kmcnt 0x0
	v_mad_co_u64_u32 v[0:1], null, s14, v2, 0
	v_mad_co_u64_u32 v[2:3], null, s12, v11, 0
	;; [unrolled: 1-line block ×3, first 2 shown]
	s_mul_u64 s[4:5], s[12:13], 0x1200
	s_delay_alu instid0(VALU_DEP_2) | instskip(NEXT) | instid1(VALU_DEP_2)
	v_mad_co_u64_u32 v[6:7], null, s15, v6, v[1:2]
	v_mov_b32_e32 v1, v5
	s_delay_alu instid0(VALU_DEP_3) | instskip(NEXT) | instid1(VALU_DEP_2)
	v_mad_co_u64_u32 v[7:8], null, s13, v11, v[3:4]
	v_mad_co_u64_u32 v[8:9], null, s13, v9, v[1:2]
	s_delay_alu instid0(VALU_DEP_4) | instskip(NEXT) | instid1(VALU_DEP_3)
	v_mov_b32_e32 v1, v6
	v_mov_b32_e32 v3, v7
	s_delay_alu instid0(VALU_DEP_2) | instskip(NEXT) | instid1(VALU_DEP_4)
	v_lshlrev_b64_e32 v[0:1], 3, v[0:1]
	v_mov_b32_e32 v5, v8
	s_delay_alu instid0(VALU_DEP_3) | instskip(NEXT) | instid1(VALU_DEP_3)
	v_lshlrev_b64_e32 v[2:3], 3, v[2:3]
	v_add_co_u32 v8, vcc_lo, s18, v0
	s_delay_alu instid0(VALU_DEP_4) | instskip(NEXT) | instid1(VALU_DEP_4)
	v_add_co_ci_u32_e32 v9, vcc_lo, s19, v1, vcc_lo
	v_lshlrev_b64_e32 v[0:1], 3, v[4:5]
	s_delay_alu instid0(VALU_DEP_3) | instskip(SKIP_1) | instid1(VALU_DEP_3)
	v_add_co_u32 v6, vcc_lo, v8, v2
	s_wait_alu 0xfffd
	v_add_co_ci_u32_e32 v7, vcc_lo, v9, v3, vcc_lo
	s_delay_alu instid0(VALU_DEP_3)
	v_add_co_u32 v0, vcc_lo, v8, v0
	s_wait_alu 0xfffd
	v_add_co_ci_u32_e32 v1, vcc_lo, v9, v1, vcc_lo
	global_load_b64 v[21:22], v203, s[8:9]
	global_load_b64 v[2:3], v[6:7], off
	global_load_b64 v[15:16], v203, s[8:9] offset:18432
	global_load_b64 v[4:5], v[0:1], off
	v_add_co_u32 v0, vcc_lo, v6, s4
	s_wait_alu 0xfffd
	v_add_co_ci_u32_e32 v1, vcc_lo, s5, v7, vcc_lo
	global_load_b64 v[19:20], v203, s[8:9] offset:4608
	global_load_b64 v[6:7], v[0:1], off
	v_add_co_u32 v8, vcc_lo, v0, s4
	s_wait_alu 0xfffd
	v_add_co_ci_u32_e32 v9, vcc_lo, s5, v1, vcc_lo
	v_mov_b32_e32 v97, v11
	s_delay_alu instid0(VALU_DEP_3) | instskip(SKIP_1) | instid1(VALU_DEP_3)
	v_add_co_u32 v10, vcc_lo, v8, s4
	s_wait_alu 0xfffd
	v_add_co_ci_u32_e32 v11, vcc_lo, s5, v9, vcc_lo
	s_delay_alu instid0(VALU_DEP_1) | instskip(SKIP_1) | instid1(VALU_DEP_1)
	v_mad_co_u64_u32 v[0:1], null, 0x2400, s12, v[10:11]
	s_wait_loadcnt 0x4
	v_mad_co_u64_u32 v[12:13], null, 0x2400, s13, v[1:2]
	s_wait_loadcnt 0x3
	v_dual_mul_f32 v13, v3, v22 :: v_dual_mov_b32 v18, v16
	v_mul_f32_e32 v14, v2, v22
	s_mul_u64 s[12:13], s[12:13], s[2:3]
	s_delay_alu instid0(VALU_DEP_2)
	v_fmac_f32_e32 v13, v2, v21
	s_wait_loadcnt 0x0
	v_mul_f32_e32 v2, v6, v20
	s_clause 0x5
	global_load_b64 v[25:26], v203, s[8:9] offset:1152
	global_load_b64 v[230:231], v203, s[8:9] offset:2304
	global_load_b64 v[31:32], v203, s[8:9] offset:3456
	global_load_b64 v[227:228], v203, s[8:9] offset:19584
	global_load_b64 v[27:28], v203, s[8:9] offset:20736
	global_load_b64 v[23:24], v203, s[8:9] offset:21888
	s_clause 0x1
	global_load_b64 v[8:9], v[8:9], off
	global_load_b64 v[10:11], v[10:11], off
	v_mov_b32_e32 v17, v15
	scratch_store_b64 off, v[21:22], off offset:52 ; 8-byte Folded Spill
	v_fma_f32 v14, v3, v21, -v14
	v_fma_f32 v3, v7, v19, -v2
	v_mul_f32_e32 v2, v7, v20
	scratch_store_b64 off, v[17:18], off offset:20 ; 8-byte Folded Spill
	s_clause 0x2
	global_load_b64 v[214:215], v203, s[8:9] offset:5760
	global_load_b64 v[232:233], v203, s[8:9] offset:6912
	;; [unrolled: 1-line block ×3, first 2 shown]
	scratch_store_b64 off, v[19:20], off offset:28 ; 8-byte Folded Spill
	s_clause 0x7
	global_load_b64 v[210:211], v203, s[8:9] offset:9216
	global_load_b64 v[206:207], v203, s[8:9] offset:10368
	;; [unrolled: 1-line block ×8, first 2 shown]
	v_mov_b32_e32 v1, v12
	v_dual_mul_f32 v15, v5, v18 :: v_dual_fmac_f32 v2, v6, v19
	v_mul_f32_e32 v16, v4, v18
	v_add_nc_u32_e32 v208, 0x2800, v203
	v_add_nc_u32_e32 v254, 0x5c00, v203
	;; [unrolled: 1-line block ×4, first 2 shown]
	v_fma_f32 v16, v5, v17, -v16
	v_add_nc_u32_e32 v216, 0x1800, v203
	v_add_nc_u32_e32 v156, 0x3c00, v203
	v_add_co_u32 v91, null, 0x90, v97
	v_add_nc_u32_e32 v253, 0x4c00, v203
	v_add_nc_u32_e32 v219, 0x2400, v203
	v_add_nc_u32_e32 v229, 0x800, v203
	v_add_nc_u32_e32 v213, 0x3400, v203
	v_add_nc_u32_e32 v159, 0x2c00, v203
	v_add_nc_u32_e32 v209, 0x5000, v203
	s_wait_loadcnt 0x3
	v_dual_mul_f32 v6, v10, v205 :: v_dual_add_nc_u32 v241, 0x6000, v203
	s_delay_alu instid0(VALU_DEP_1) | instskip(SKIP_3) | instid1(VALU_DEP_3)
	v_fma_f32 v7, v11, v204, -v6
	v_mul_f32_e32 v6, v11, v205
	v_fmac_f32_e32 v15, v4, v17
	v_mul_f32_e32 v4, v8, v211
	v_fmac_f32_e32 v6, v10, v204
	s_delay_alu instid0(VALU_DEP_2) | instskip(SKIP_1) | instid1(VALU_DEP_1)
	v_fma_f32 v5, v9, v210, -v4
	v_mul_f32_e32 v4, v9, v211
	v_fmac_f32_e32 v4, v8, v210
	s_wait_alu 0xfffe
	v_add_co_u32 v8, vcc_lo, v0, s12
	s_wait_alu 0xfffd
	v_add_co_ci_u32_e32 v9, vcc_lo, s13, v1, vcc_lo
	global_load_b64 v[0:1], v[0:1], off
	s_clause 0x3
	global_load_b64 v[223:224], v203, s[8:9] offset:23040
	global_load_b64 v[225:226], v203, s[8:9] offset:24192
	;; [unrolled: 1-line block ×4, first 2 shown]
	scratch_store_b64 off, v[25:26], off offset:36 ; 8-byte Folded Spill
	s_wait_loadcnt 0x3
	v_mul_f32_e32 v10, v0, v224
	s_delay_alu instid0(VALU_DEP_1) | instskip(SKIP_1) | instid1(VALU_DEP_1)
	v_fma_f32 v11, v1, v223, -v10
	v_mul_f32_e32 v10, v1, v224
	v_fmac_f32_e32 v10, v0, v223
	global_load_b64 v[0:1], v[8:9], off
	s_wait_loadcnt 0x0
	v_mul_f32_e32 v17, v1, v26
	v_mul_f32_e32 v12, v0, v26
	s_delay_alu instid0(VALU_DEP_2) | instskip(SKIP_1) | instid1(VALU_DEP_3)
	v_fmac_f32_e32 v17, v0, v25
	v_add_co_u32 v0, vcc_lo, v8, s4
	v_fma_f32 v18, v1, v25, -v12
	s_wait_alu 0xfffd
	v_add_co_ci_u32_e32 v1, vcc_lo, s5, v9, vcc_lo
	ds_store_b64 v203, v[2:3] offset:4608
	ds_store_b64 v203, v[4:5] offset:9216
	;; [unrolled: 1-line block ×5, first 2 shown]
	ds_store_2addr_b64 v203, v[13:14], v[17:18] offset1:144
	v_add_co_u32 v2, vcc_lo, v0, s4
	s_wait_alu 0xfffd
	v_add_co_ci_u32_e32 v3, vcc_lo, s5, v1, vcc_lo
	global_load_b64 v[0:1], v[0:1], off
	v_add_nc_u32_e32 v17, 0x5800, v203
	v_add_nc_u32_e32 v252, 0x3800, v203
	s_clause 0x2
	scratch_store_b64 off, v[27:28], off offset:44
	scratch_store_b64 off, v[19:20], off offset:60
	;; [unrolled: 1-line block ×3, first 2 shown]
	v_mov_b32_e32 v255, v17
	s_clause 0x2
	scratch_store_b64 off, v[31:32], off offset:128
	scratch_store_b64 off, v[29:30], off offset:84
	;; [unrolled: 1-line block ×3, first 2 shown]
	s_wait_loadcnt 0x0
	v_mul_f32_e32 v4, v0, v215
	s_delay_alu instid0(VALU_DEP_1) | instskip(SKIP_1) | instid1(VALU_DEP_1)
	v_fma_f32 v5, v1, v214, -v4
	v_mul_f32_e32 v4, v1, v215
	v_fmac_f32_e32 v4, v0, v214
	v_add_co_u32 v0, vcc_lo, v2, s4
	s_wait_alu 0xfffd
	v_add_co_ci_u32_e32 v1, vcc_lo, s5, v3, vcc_lo
	global_load_b64 v[2:3], v[2:3], off
	v_add_co_u32 v6, vcc_lo, v0, s4
	s_wait_alu 0xfffd
	v_add_co_ci_u32_e32 v7, vcc_lo, s5, v1, vcc_lo
	global_load_b64 v[0:1], v[0:1], off
	v_add_co_u32 v8, vcc_lo, v6, s4
	s_wait_alu 0xfffd
	v_add_co_ci_u32_e32 v9, vcc_lo, s5, v7, vcc_lo
	s_delay_alu instid0(VALU_DEP_2) | instskip(SKIP_1) | instid1(VALU_DEP_2)
	v_add_co_u32 v10, vcc_lo, v8, s12
	s_wait_alu 0xfffd
	v_add_co_ci_u32_e32 v11, vcc_lo, s13, v9, vcc_lo
	s_delay_alu instid0(VALU_DEP_2) | instskip(SKIP_1) | instid1(VALU_DEP_2)
	v_add_co_u32 v12, vcc_lo, v10, s4
	s_wait_alu 0xfffd
	v_add_co_ci_u32_e32 v13, vcc_lo, s5, v11, vcc_lo
	global_load_b64 v[14:15], v[12:13], off
	s_wait_loadcnt 0x0
	v_mul_f32_e32 v16, v14, v233
	s_delay_alu instid0(VALU_DEP_1) | instskip(SKIP_1) | instid1(VALU_DEP_1)
	v_fma_f32 v16, v15, v232, -v16
	v_mul_f32_e32 v15, v15, v233
	v_dual_fmac_f32 v15, v14, v232 :: v_dual_add_nc_u32 v14, 0x1400, v203
	ds_store_2addr_b64 v14, v[4:5], v[15:16] offset0:80 offset1:224
	v_add_co_u32 v4, vcc_lo, v12, s4
	v_mul_f32_e32 v12, v2, v207
	s_wait_alu 0xfffd
	v_add_co_ci_u32_e32 v5, vcc_lo, s5, v13, vcc_lo
	s_delay_alu instid0(VALU_DEP_2) | instskip(SKIP_1) | instid1(VALU_DEP_1)
	v_fma_f32 v13, v3, v206, -v12
	v_mul_f32_e32 v12, v3, v207
	v_fmac_f32_e32 v12, v2, v206
	global_load_b64 v[2:3], v[4:5], off
	s_wait_loadcnt 0x0
	v_mul_f32_e32 v14, v2, v235
	s_delay_alu instid0(VALU_DEP_1) | instskip(SKIP_1) | instid1(VALU_DEP_1)
	v_fma_f32 v15, v3, v234, -v14
	v_mul_f32_e32 v14, v3, v235
	v_fmac_f32_e32 v14, v2, v234
	v_add_co_u32 v2, vcc_lo, v4, s4
	v_mul_f32_e32 v4, v0, v222
	s_wait_alu 0xfffd
	v_add_co_ci_u32_e32 v3, vcc_lo, s5, v5, vcc_lo
	ds_store_2addr_b64 v208, v[12:13], v[14:15] offset0:16 offset1:160
	v_fma_f32 v5, v1, v221, -v4
	v_mul_f32_e32 v4, v1, v222
	s_delay_alu instid0(VALU_DEP_1) | instskip(SKIP_3) | instid1(VALU_DEP_1)
	v_fmac_f32_e32 v4, v0, v221
	global_load_b64 v[0:1], v[2:3], off
	s_wait_loadcnt 0x0
	v_mul_f32_e32 v12, v0, v237
	v_fma_f32 v13, v1, v236, -v12
	v_mul_f32_e32 v12, v1, v237
	s_delay_alu instid0(VALU_DEP_1)
	v_fmac_f32_e32 v12, v0, v236
	v_add_co_u32 v0, vcc_lo, v2, s4
	s_wait_alu 0xfffd
	v_add_co_ci_u32_e32 v1, vcc_lo, s5, v3, vcc_lo
	global_load_b64 v[2:3], v[6:7], off
	ds_store_2addr_b64 v252, v[4:5], v[12:13] offset0:80 offset1:224
	global_load_b64 v[5:6], v[0:1], off
	v_add_co_u32 v0, vcc_lo, v0, s4
	s_wait_alu 0xfffd
	v_add_co_ci_u32_e32 v1, vcc_lo, s5, v1, vcc_lo
	s_wait_loadcnt 0x1
	v_mul_f32_e32 v4, v2, v228
	s_delay_alu instid0(VALU_DEP_1) | instskip(SKIP_2) | instid1(VALU_DEP_1)
	v_fma_f32 v4, v3, v227, -v4
	v_mul_f32_e32 v3, v3, v228
	s_wait_loadcnt 0x0
	v_dual_fmac_f32 v3, v2, v227 :: v_dual_mul_f32 v2, v5, v28
	s_delay_alu instid0(VALU_DEP_1) | instskip(SKIP_1) | instid1(VALU_DEP_1)
	v_fma_f32 v7, v6, v27, -v2
	v_mul_f32_e32 v6, v6, v28
	v_fmac_f32_e32 v6, v5, v27
	ds_store_2addr_b64 v253, v[3:4], v[6:7] offset0:16 offset1:160
	global_load_b64 v[2:3], v[8:9], off
	global_load_b64 v[5:6], v[0:1], off
	v_add_co_u32 v0, vcc_lo, v0, s12
	s_wait_alu 0xfffd
	v_add_co_ci_u32_e32 v1, vcc_lo, s13, v1, vcc_lo
	s_wait_loadcnt 0x1
	v_mul_f32_e32 v4, v2, v226
	s_delay_alu instid0(VALU_DEP_1) | instskip(SKIP_2) | instid1(VALU_DEP_1)
	v_fma_f32 v4, v3, v225, -v4
	v_mul_f32_e32 v3, v3, v226
	s_wait_loadcnt 0x0
	v_dual_fmac_f32 v3, v2, v225 :: v_dual_mul_f32 v2, v5, v20
	s_delay_alu instid0(VALU_DEP_1) | instskip(SKIP_1) | instid1(VALU_DEP_1)
	v_fma_f32 v7, v6, v19, -v2
	v_mul_f32_e32 v6, v6, v20
	v_fmac_f32_e32 v6, v5, v19
	ds_store_2addr_b64 v254, v[3:4], v[6:7] offset0:80 offset1:224
	global_load_b64 v[2:3], v[10:11], off
	global_load_b64 v[5:6], v[0:1], off
	v_add_co_u32 v0, vcc_lo, v0, s4
	s_wait_alu 0xfffd
	v_add_co_ci_u32_e32 v1, vcc_lo, s5, v1, vcc_lo
	s_wait_loadcnt 0x1
	v_mul_f32_e32 v4, v2, v231
	s_delay_alu instid0(VALU_DEP_1) | instskip(SKIP_2) | instid1(VALU_DEP_1)
	v_fma_f32 v4, v3, v230, -v4
	v_mul_f32_e32 v3, v3, v231
	s_wait_loadcnt 0x0
	v_dual_fmac_f32 v3, v2, v230 :: v_dual_mul_f32 v2, v5, v32
	s_delay_alu instid0(VALU_DEP_1) | instskip(SKIP_2) | instid1(VALU_DEP_2)
	v_fma_f32 v7, v6, v31, -v2
	v_mul_f32_e32 v6, v6, v32
	v_add_co_u32 v2, vcc_lo, v0, s4
	v_fmac_f32_e32 v6, v5, v31
	ds_store_2addr_b64 v229, v[3:4], v[6:7] offset0:32 offset1:176
	s_wait_alu 0xfffd
	v_add_co_ci_u32_e32 v3, vcc_lo, s5, v1, vcc_lo
	global_load_b64 v[0:1], v[0:1], off
	s_wait_loadcnt 0x0
	v_mul_f32_e32 v4, v0, v240
	s_delay_alu instid0(VALU_DEP_1) | instskip(SKIP_1) | instid1(VALU_DEP_1)
	v_fma_f32 v5, v1, v239, -v4
	v_mul_f32_e32 v4, v1, v240
	v_fmac_f32_e32 v4, v0, v239
	v_add_co_u32 v0, vcc_lo, v2, s4
	s_wait_alu 0xfffd
	v_add_co_ci_u32_e32 v1, vcc_lo, s5, v3, vcc_lo
	global_load_b64 v[2:3], v[2:3], off
	s_wait_loadcnt 0x0
	v_mul_f32_e32 v6, v2, v243
	s_delay_alu instid0(VALU_DEP_1) | instskip(SKIP_1) | instid1(VALU_DEP_1)
	v_fma_f32 v7, v3, v242, -v6
	v_mul_f32_e32 v6, v3, v243
	v_fmac_f32_e32 v6, v2, v242
	v_add_co_u32 v2, vcc_lo, v0, s4
	;; [unrolled: 10-line block ×3, first 2 shown]
	s_wait_alu 0xfffd
	v_add_co_ci_u32_e32 v1, vcc_lo, s5, v3, vcc_lo
	global_load_b64 v[2:3], v[2:3], off
	v_cmp_gt_u16_e32 vcc_lo, 0x48, v90
	global_load_b64 v[0:1], v[0:1], off
	s_wait_loadcnt 0x1
	v_mul_f32_e32 v10, v2, v24
	s_delay_alu instid0(VALU_DEP_1) | instskip(SKIP_1) | instid1(VALU_DEP_1)
	v_fma_f32 v11, v3, v23, -v10
	v_mul_f32_e32 v10, v3, v24
	v_fmac_f32_e32 v10, v2, v23
	s_wait_loadcnt 0x0
	v_mul_f32_e32 v2, v0, v30
	s_delay_alu instid0(VALU_DEP_1) | instskip(SKIP_1) | instid1(VALU_DEP_1)
	v_fma_f32 v2, v1, v29, -v2
	v_mul_f32_e32 v1, v1, v30
	v_fmac_f32_e32 v1, v0, v29
	ds_store_b64 v203, v[4:5] offset:8064
	ds_store_b64 v203, v[6:7] offset:12672
	;; [unrolled: 1-line block ×5, first 2 shown]
	s_load_b128 s[4:7], s[6:7], 0x0
	global_wb scope:SCOPE_SE
	s_wait_storecnt_dscnt 0x0
	s_wait_kmcnt 0x0
	s_barrier_signal -1
	s_barrier_wait -1
	global_inv scope:SCOPE_SE
	ds_load_2addr_b64 v[0:3], v203 offset1:144
	ds_load_2addr_b64 v[4:7], v219 offset1:144
	;; [unrolled: 1-line block ×3, first 2 shown]
	s_mul_u64 s[2:3], s[4:5], s[2:3]
	s_wait_dscnt 0x1
	v_dual_add_f32 v13, v1, v5 :: v_dual_add_f32 v12, v0, v4
	s_wait_dscnt 0x0
	v_dual_add_f32 v24, v4, v8 :: v_dual_sub_f32 v25, v5, v9
	v_dual_sub_f32 v27, v4, v8 :: v_dual_add_f32 v26, v5, v9
	v_add_f32_e32 v5, v3, v7
	v_dual_add_f32 v33, v13, v9 :: v_dual_add_f32 v4, v2, v6
	v_dual_add_f32 v28, v6, v10 :: v_dual_sub_f32 v29, v7, v11
	v_dual_add_f32 v30, v7, v11 :: v_dual_sub_f32 v31, v6, v10
	s_delay_alu instid0(VALU_DEP_3)
	v_dual_add_f32 v34, v4, v10 :: v_dual_add_f32 v35, v5, v11
	v_fma_f32 v1, -0.5, v26, v1
	v_add_f32_e32 v32, v12, v8
	ds_load_2addr_b64 v[4:7], v162 offset0:64 offset1:208
	ds_load_2addr_b64 v[8:11], v213 offset0:64 offset1:208
	s_wait_dscnt 0x0
	v_add_f32_e32 v16, v4, v8
	ds_load_2addr_b64 v[12:15], v17 offset0:64 offset1:208
	v_add_f32_e32 v17, v5, v9
	s_wait_dscnt 0x0
	v_add_f32_e32 v38, v9, v13
	v_sub_f32_e32 v37, v9, v13
	v_sub_f32_e32 v39, v8, v12
	v_dual_add_f32 v9, v7, v11 :: v_dual_add_f32 v40, v10, v14
	s_delay_alu instid0(VALU_DEP_4) | instskip(SKIP_4) | instid1(VALU_DEP_3)
	v_fma_f32 v5, -0.5, v38, v5
	v_add_f32_e32 v36, v8, v12
	v_dual_add_f32 v8, v6, v10 :: v_dual_sub_f32 v41, v11, v15
	v_dual_add_f32 v42, v11, v15 :: v_dual_sub_f32 v43, v10, v14
	v_dual_add_f32 v44, v16, v12 :: v_dual_add_f32 v45, v17, v13
	v_dual_add_f32 v46, v8, v14 :: v_dual_add_f32 v47, v9, v15
	ds_load_2addr_b64 v[8:11], v229 offset0:32 offset1:176
	ds_load_2addr_b64 v[12:15], v159 offset0:32 offset1:176
	;; [unrolled: 1-line block ×3, first 2 shown]
	s_wait_dscnt 0x1
	v_add_f32_e32 v20, v8, v12
	s_wait_dscnt 0x0
	v_dual_add_f32 v48, v12, v16 :: v_dual_sub_f32 v49, v13, v17
	v_add_f32_e32 v21, v9, v13
	v_dual_add_f32 v50, v13, v17 :: v_dual_sub_f32 v51, v12, v16
	v_dual_add_f32 v12, v10, v14 :: v_dual_add_f32 v13, v11, v15
	v_dual_add_f32 v52, v14, v18 :: v_dual_sub_f32 v53, v15, v19
	v_dual_add_f32 v54, v15, v19 :: v_dual_sub_f32 v55, v14, v18
	v_dual_add_f32 v56, v20, v16 :: v_dual_add_f32 v57, v21, v17
	s_delay_alu instid0(VALU_DEP_4)
	v_dual_add_f32 v58, v12, v18 :: v_dual_add_f32 v59, v13, v19
	ds_load_2addr_b64 v[12:15], v216 offset0:96 offset1:240
	ds_load_2addr_b64 v[16:19], v156 offset0:96 offset1:240
	ds_load_2addr_b64 v[20:23], v241 offset0:96 offset1:240
	global_wb scope:SCOPE_SE
	s_wait_dscnt 0x0
	s_barrier_signal -1
	s_barrier_wait -1
	global_inv scope:SCOPE_SE
	v_add_f32_e32 v63, v13, v17
	v_sub_f32_e32 v62, v17, v21
	v_dual_add_f32 v64, v17, v21 :: v_dual_sub_f32 v65, v16, v20
	v_sub_f32_e32 v67, v19, v23
	v_add_f32_e32 v17, v15, v19
	v_add_f32_e32 v68, v19, v23
	v_fmamk_f32 v19, v39, 0xbf5db3d7, v5
	v_fmac_f32_e32 v5, 0x3f5db3d7, v39
	v_fma_f32 v4, -0.5, v36, v4
	v_add_f32_e32 v60, v12, v16
	v_dual_add_f32 v61, v16, v20 :: v_dual_add_f32 v16, v14, v18
	v_add_f32_e32 v66, v18, v22
	v_sub_f32_e32 v69, v18, v22
	v_add_f32_e32 v71, v17, v23
	v_fmamk_f32 v18, v37, 0x3f5db3d7, v4
	v_fmac_f32_e32 v4, 0xbf5db3d7, v37
	v_fma_f32 v0, -0.5, v24, v0
	v_dual_add_f32 v63, v63, v21 :: v_dual_add_f32 v70, v16, v22
	v_dual_mul_f32 v26, 0x3f5db3d7, v19 :: v_dual_add_f32 v17, v33, v45
	s_delay_alu instid0(VALU_DEP_3)
	v_fmamk_f32 v24, v25, 0x3f5db3d7, v0
	v_dual_fmac_f32 v0, 0xbf5db3d7, v25 :: v_dual_fmamk_f32 v25, v27, 0xbf5db3d7, v1
	v_dual_fmac_f32 v1, 0x3f5db3d7, v27 :: v_dual_add_f32 v16, v32, v44
	v_sub_f32_e32 v22, v32, v44
	v_dual_mul_f32 v32, -0.5, v4 :: v_dual_mul_f32 v27, 0xbf5db3d7, v18
	v_fmac_f32_e32 v26, 0.5, v18
	v_dual_add_f32 v60, v60, v20 :: v_dual_sub_f32 v23, v33, v45
	s_delay_alu instid0(VALU_DEP_3) | instskip(SKIP_1) | instid1(VALU_DEP_4)
	v_fmac_f32_e32 v32, 0x3f5db3d7, v5
	v_mul_f32_e32 v5, -0.5, v5
	v_dual_fmac_f32 v27, 0.5, v19 :: v_dual_add_f32 v18, v24, v26
	s_delay_alu instid0(VALU_DEP_3) | instskip(NEXT) | instid1(VALU_DEP_3)
	v_dual_fmac_f32 v3, -0.5, v30 :: v_dual_add_f32 v20, v0, v32
	v_fmac_f32_e32 v5, 0xbf5db3d7, v4
	v_mul_lo_u16 v4, v90, 6
	s_delay_alu instid0(VALU_DEP_4) | instskip(SKIP_2) | instid1(VALU_DEP_4)
	v_add_f32_e32 v19, v25, v27
	v_fma_f32 v2, -0.5, v28, v2
	v_fmac_f32_e32 v11, -0.5, v54
	v_dual_add_f32 v21, v1, v5 :: v_dual_and_b32 v4, 0xffff, v4
	v_fmac_f32_e32 v7, -0.5, v42
	v_and_b32_e32 v33, 0xff, v90
	v_add_co_u32 v36, null, 0x120, v97
	s_delay_alu instid0(VALU_DEP_4)
	v_lshlrev_b32_e32 v220, 3, v4
	ds_store_b128 v220, v[16:19]
	ds_store_b128 v220, v[20:23] offset:16
	v_sub_f32_e32 v18, v0, v32
	v_fma_f32 v0, -0.5, v40, v6
	v_fmamk_f32 v6, v43, 0xbf5db3d7, v7
	v_dual_sub_f32 v16, v24, v26 :: v_dual_sub_f32 v19, v1, v5
	v_fmac_f32_e32 v7, 0x3f5db3d7, v43
	s_delay_alu instid0(VALU_DEP_4) | instskip(SKIP_2) | instid1(VALU_DEP_4)
	v_fmamk_f32 v1, v41, 0x3f5db3d7, v0
	v_fmac_f32_e32 v0, 0xbf5db3d7, v41
	v_dual_mul_f32 v24, 0x3f5db3d7, v6 :: v_dual_sub_f32 v17, v25, v27
	v_dual_mul_f32 v21, -0.5, v7 :: v_dual_fmamk_f32 v22, v29, 0x3f5db3d7, v2
	s_delay_alu instid0(VALU_DEP_3) | instskip(NEXT) | instid1(VALU_DEP_3)
	v_mul_f32_e32 v20, -0.5, v0
	v_fmac_f32_e32 v24, 0.5, v1
	v_mul_f32_e32 v1, 0xbf5db3d7, v1
	v_dual_fmac_f32 v2, 0xbf5db3d7, v29 :: v_dual_fmamk_f32 v23, v31, 0xbf5db3d7, v3
	s_delay_alu instid0(VALU_DEP_4) | instskip(SKIP_1) | instid1(VALU_DEP_4)
	v_fmac_f32_e32 v20, 0x3f5db3d7, v7
	v_fmac_f32_e32 v3, 0x3f5db3d7, v31
	v_fmac_f32_e32 v1, 0.5, v6
	v_fmac_f32_e32 v21, 0xbf5db3d7, v0
	v_mul_u32_u24_e32 v0, 6, v91
	ds_store_b128 v220, v[16:19] offset:32
	v_dual_add_f32 v4, v34, v46 :: v_dual_add_f32 v5, v35, v47
	v_add_f32_e32 v6, v22, v24
	v_dual_add_f32 v7, v23, v1 :: v_dual_lshlrev_b32 v218, 3, v0
	v_dual_add_f32 v16, v2, v20 :: v_dual_add_f32 v17, v3, v21
	v_dual_sub_f32 v3, v3, v21 :: v_dual_sub_f32 v0, v22, v24
	v_dual_sub_f32 v2, v2, v20 :: v_dual_sub_f32 v1, v23, v1
	;; [unrolled: 1-line block ×3, first 2 shown]
	ds_store_b128 v218, v[4:7]
	ds_store_b128 v218, v[16:19] offset:16
	ds_store_b128 v218, v[0:3] offset:32
	v_fma_f32 v2, -0.5, v61, v12
	v_fma_f32 v8, -0.5, v48, v8
	;; [unrolled: 1-line block ×3, first 2 shown]
	v_dual_add_f32 v0, v56, v60 :: v_dual_add_f32 v1, v57, v63
	s_delay_alu instid0(VALU_DEP_4) | instskip(SKIP_3) | instid1(VALU_DEP_4)
	v_fmamk_f32 v3, v62, 0x3f5db3d7, v2
	v_fma_f32 v4, -0.5, v64, v13
	v_fmac_f32_e32 v2, 0xbf5db3d7, v62
	v_fmamk_f32 v12, v49, 0x3f5db3d7, v8
	v_dual_fmamk_f32 v16, v51, 0xbf5db3d7, v9 :: v_dual_mul_f32 v17, 0xbf5db3d7, v3
	s_delay_alu instid0(VALU_DEP_4)
	v_fmamk_f32 v5, v65, 0xbf5db3d7, v4
	v_fmac_f32_e32 v4, 0x3f5db3d7, v65
	v_mul_f32_e32 v18, -0.5, v2
	v_fmac_f32_e32 v8, 0xbf5db3d7, v49
	v_fmac_f32_e32 v9, 0x3f5db3d7, v51
	v_mul_f32_e32 v13, 0x3f5db3d7, v5
	v_mul_f32_e32 v19, -0.5, v4
	v_dual_fmac_f32 v17, 0.5, v5 :: v_dual_fmac_f32 v18, 0x3f5db3d7, v4
	s_delay_alu instid0(VALU_DEP_3) | instskip(NEXT) | instid1(VALU_DEP_3)
	v_dual_sub_f32 v6, v56, v60 :: v_dual_fmac_f32 v13, 0.5, v3
	v_fmac_f32_e32 v19, 0xbf5db3d7, v2
	v_mul_u32_u24_e32 v2, 6, v36
	s_delay_alu instid0(VALU_DEP_4) | instskip(SKIP_1) | instid1(VALU_DEP_4)
	v_add_f32_e32 v3, v16, v17
	v_dual_sub_f32 v7, v57, v63 :: v_dual_add_f32 v4, v8, v18
	v_add_f32_e32 v5, v9, v19
	s_delay_alu instid0(VALU_DEP_4)
	v_dual_add_f32 v2, v12, v13 :: v_dual_lshlrev_b32 v217, 3, v2
	ds_store_b128 v217, v[0:3]
	ds_store_b128 v217, v[4:7] offset:16
	v_sub_f32_e32 v0, v12, v13
	v_sub_f32_e32 v2, v8, v18
	;; [unrolled: 1-line block ×4, first 2 shown]
	v_fmac_f32_e32 v15, -0.5, v68
	v_fma_f32 v10, -0.5, v52, v10
	v_add_co_u32 v40, null, 0x1b0, v97
	ds_store_b128 v217, v[0:3] offset:32
	v_fma_f32 v2, -0.5, v66, v14
	v_fmamk_f32 v4, v69, 0xbf5db3d7, v15
	v_dual_fmac_f32 v15, 0x3f5db3d7, v69 :: v_dual_fmamk_f32 v12, v53, 0x3f5db3d7, v10
	v_fmamk_f32 v13, v55, 0xbf5db3d7, v11
	s_delay_alu instid0(VALU_DEP_4) | instskip(SKIP_1) | instid1(VALU_DEP_4)
	v_fmamk_f32 v3, v67, 0x3f5db3d7, v2
	v_fmac_f32_e32 v2, 0xbf5db3d7, v67
	v_dual_mul_f32 v9, -0.5, v15 :: v_dual_mul_f32 v14, 0x3f5db3d7, v4
	v_fmac_f32_e32 v10, 0xbf5db3d7, v53
	s_delay_alu instid0(VALU_DEP_3) | instskip(NEXT) | instid1(VALU_DEP_3)
	v_dual_fmac_f32 v11, 0x3f5db3d7, v55 :: v_dual_mul_f32 v8, -0.5, v2
	v_dual_fmac_f32 v9, 0xbf5db3d7, v2 :: v_dual_fmac_f32 v14, 0.5, v3
	v_mul_u32_u24_e32 v2, 6, v40
	v_dual_add_f32 v0, v58, v70 :: v_dual_and_b32 v37, 0xffff, v40
	s_delay_alu instid0(VALU_DEP_4) | instskip(SKIP_1) | instid1(VALU_DEP_4)
	v_fmac_f32_e32 v8, 0x3f5db3d7, v15
	v_mul_f32_e32 v15, 0xbf5db3d7, v3
	v_dual_add_f32 v1, v59, v71 :: v_dual_lshlrev_b32 v16, 3, v2
	v_add_f32_e32 v2, v12, v14
	s_delay_alu instid0(VALU_DEP_3)
	v_dual_sub_f32 v6, v58, v70 :: v_dual_fmac_f32 v15, 0.5, v4
	v_dual_sub_f32 v7, v59, v71 :: v_dual_add_f32 v4, v10, v8
	v_add_f32_e32 v5, v11, v9
	scratch_store_b32 off, v16, off offset:80 ; 4-byte Folded Spill
	v_add_f32_e32 v3, v13, v15
	ds_store_b128 v16, v[0:3]
	ds_store_b128 v16, v[4:7] offset:16
	v_dual_sub_f32 v3, v11, v9 :: v_dual_sub_f32 v0, v12, v14
	v_dual_sub_f32 v2, v10, v8 :: v_dual_sub_f32 v1, v13, v15
	v_and_b32_e32 v32, 0xffff, v91
	ds_store_b128 v16, v[0:3] offset:32
	v_mul_u32_u24_e32 v0, 0xaaab, v32
	global_wb scope:SCOPE_SE
	s_wait_storecnt_dscnt 0x0
	s_barrier_signal -1
	s_barrier_wait -1
	global_inv scope:SCOPE_SE
	v_lshrrev_b32_e32 v34, 18, v0
	v_mul_lo_u16 v0, 0xab, v33
	s_delay_alu instid0(VALU_DEP_1) | instskip(NEXT) | instid1(VALU_DEP_3)
	v_lshrrev_b16 v39, 10, v0
	v_mul_lo_u16 v0, v34, 6
	s_delay_alu instid0(VALU_DEP_1) | instskip(NEXT) | instid1(VALU_DEP_3)
	v_sub_nc_u16 v35, v91, v0
	v_mul_lo_u16 v0, v39, 6
	s_delay_alu instid0(VALU_DEP_2) | instskip(NEXT) | instid1(VALU_DEP_2)
	v_mul_lo_u16 v1, v35, 40
	v_sub_nc_u16 v0, v90, v0
	s_delay_alu instid0(VALU_DEP_2) | instskip(NEXT) | instid1(VALU_DEP_2)
	v_and_b32_e32 v1, 0xffff, v1
	v_and_b32_e32 v41, 0xff, v0
	s_delay_alu instid0(VALU_DEP_2) | instskip(NEXT) | instid1(VALU_DEP_2)
	v_add_co_u32 v4, s12, s10, v1
	v_mad_co_u64_u32 v[0:1], null, v41, 40, s[10:11]
	s_wait_alu 0xf1ff
	v_add_co_ci_u32_e64 v5, null, s11, 0, s12
	s_clause 0x3
	global_load_b64 v[201:202], v[0:1], off offset:32
	global_load_b128 v[136:139], v[0:1], off
	global_load_b128 v[152:155], v[0:1], off offset:16
	global_load_b128 v[144:147], v[4:5], off
	ds_load_2addr_b64 v[10:13], v162 offset0:64 offset1:208
	s_wait_loadcnt_dscnt 0x200
	v_mul_f32_e32 v0, v11, v137
	v_mul_f32_e32 v7, v10, v137
	s_wait_loadcnt 0x0
	v_mul_f32_e32 v9, v12, v145
	s_delay_alu instid0(VALU_DEP_3) | instskip(SKIP_1) | instid1(VALU_DEP_3)
	v_fma_f32 v6, v10, v136, -v0
	v_mul_f32_e32 v0, v13, v145
	v_fmac_f32_e32 v9, v13, v144
	v_fmac_f32_e32 v7, v11, v136
	s_delay_alu instid0(VALU_DEP_3)
	v_fma_f32 v8, v12, v144, -v0
	ds_load_2addr_b64 v[12:15], v219 offset1:144
	s_wait_dscnt 0x0
	v_mul_f32_e32 v0, v13, v139
	v_mul_f32_e32 v11, v12, v139
	;; [unrolled: 1-line block ×3, first 2 shown]
	s_delay_alu instid0(VALU_DEP_3) | instskip(NEXT) | instid1(VALU_DEP_3)
	v_fma_f32 v10, v12, v138, -v0
	v_dual_mul_f32 v0, v15, v147 :: v_dual_fmac_f32 v11, v13, v138
	s_delay_alu instid0(VALU_DEP_3) | instskip(NEXT) | instid1(VALU_DEP_2)
	v_dual_fmac_f32 v17, v15, v146 :: v_dual_and_b32 v38, 0xffff, v36
	v_fma_f32 v16, v14, v146, -v0
	ds_load_2addr_b64 v[12:15], v213 offset0:64 offset1:208
	s_clause 0x1
	global_load_b64 v[163:164], v[4:5], off offset:32
	global_load_b128 v[148:151], v[4:5], off offset:16
	s_wait_dscnt 0x0
	v_mul_f32_e32 v0, v13, v153
	v_mul_f32_e32 v19, v12, v153
	s_delay_alu instid0(VALU_DEP_2) | instskip(SKIP_1) | instid1(VALU_DEP_2)
	v_fma_f32 v18, v12, v152, -v0
	s_wait_loadcnt 0x0
	v_dual_fmac_f32 v19, v13, v152 :: v_dual_mul_f32 v0, v15, v149
	v_mul_f32_e32 v5, v14, v149
	s_delay_alu instid0(VALU_DEP_2) | instskip(NEXT) | instid1(VALU_DEP_2)
	v_fma_f32 v4, v14, v148, -v0
	v_fmac_f32_e32 v5, v15, v148
	ds_load_2addr_b64 v[12:15], v212 offset1:144
	s_wait_dscnt 0x0
	v_mul_f32_e32 v0, v13, v155
	v_mul_f32_e32 v25, v12, v155
	;; [unrolled: 1-line block ×3, first 2 shown]
	s_delay_alu instid0(VALU_DEP_3) | instskip(NEXT) | instid1(VALU_DEP_3)
	v_fma_f32 v24, v12, v154, -v0
	v_dual_mul_f32 v0, v15, v151 :: v_dual_fmac_f32 v25, v13, v154
	s_delay_alu instid0(VALU_DEP_3) | instskip(NEXT) | instid1(VALU_DEP_2)
	v_fmac_f32_e32 v27, v15, v150
	v_fma_f32 v26, v14, v150, -v0
	ds_load_2addr_b64 v[12:15], v255 offset0:64 offset1:208
	s_wait_dscnt 0x0
	v_mul_f32_e32 v0, v13, v202
	s_delay_alu instid0(VALU_DEP_1) | instskip(SKIP_2) | instid1(VALU_DEP_2)
	v_fma_f32 v28, v12, v201, -v0
	v_mul_f32_e32 v12, v12, v202
	v_mul_f32_e32 v0, v15, v164
	v_fmac_f32_e32 v12, v13, v201
	s_delay_alu instid0(VALU_DEP_2) | instskip(SKIP_2) | instid1(VALU_DEP_2)
	v_fma_f32 v13, v14, v163, -v0
	v_mul_f32_e32 v14, v14, v164
	v_mul_u32_u24_e32 v0, 0xaaab, v38
	v_fmac_f32_e32 v14, v15, v163
	s_delay_alu instid0(VALU_DEP_2) | instskip(SKIP_1) | instid1(VALU_DEP_1)
	v_lshrrev_b32_e32 v15, 18, v0
	v_mul_u32_u24_e32 v0, 0xaaab, v37
	v_lshrrev_b32_e32 v29, 18, v0
	s_delay_alu instid0(VALU_DEP_3) | instskip(NEXT) | instid1(VALU_DEP_1)
	v_mul_lo_u16 v0, v15, 6
	v_sub_nc_u16 v30, v36, v0
	s_delay_alu instid0(VALU_DEP_3) | instskip(NEXT) | instid1(VALU_DEP_1)
	v_mul_lo_u16 v0, v29, 6
	v_sub_nc_u16 v31, v40, v0
	s_delay_alu instid0(VALU_DEP_3) | instskip(NEXT) | instid1(VALU_DEP_2)
	v_mul_lo_u16 v0, v30, 40
	v_mul_lo_u16 v1, v31, 40
	s_delay_alu instid0(VALU_DEP_2) | instskip(NEXT) | instid1(VALU_DEP_2)
	v_and_b32_e32 v0, 0xffff, v0
	v_and_b32_e32 v2, 0xffff, v1
	s_delay_alu instid0(VALU_DEP_2) | instskip(SKIP_2) | instid1(VALU_DEP_3)
	v_add_co_u32 v0, s12, s10, v0
	s_wait_alu 0xf1ff
	v_add_co_ci_u32_e64 v1, null, s11, 0, s12
	v_add_co_u32 v2, s12, s10, v2
	s_wait_alu 0xf1ff
	v_add_co_ci_u32_e64 v3, null, s11, 0, s12
	s_clause 0x2
	global_load_b64 v[165:166], v[0:1], off offset:32
	global_load_b128 v[124:127], v[0:1], off
	global_load_b128 v[140:143], v[0:1], off offset:16
	ds_load_2addr_b64 v[20:23], v216 offset0:96 offset1:240
	ds_load_2addr_b64 v[42:45], v156 offset0:96 offset1:240
	global_load_b128 v[128:131], v[2:3], off
	s_wait_loadcnt_dscnt 0x201
	v_dual_add_f32 v1, v10, v24 :: v_dual_mul_f32 v0, v21, v125
	v_mul_f32_e32 v50, v20, v125
	s_wait_loadcnt_dscnt 0x100
	v_mul_f32_e32 v54, v42, v141
	s_wait_loadcnt 0x0
	v_mul_f32_e32 v52, v22, v129
	v_fma_f32 v49, v20, v124, -v0
	v_mul_f32_e32 v0, v23, v129
	v_fmac_f32_e32 v50, v21, v124
	v_fmac_f32_e32 v54, v43, v140
	;; [unrolled: 1-line block ×3, first 2 shown]
	s_delay_alu instid0(VALU_DEP_4)
	v_fma_f32 v51, v22, v128, -v0
	ds_load_2addr_b64 v[20:23], v159 offset0:32 offset1:176
	s_clause 0x1
	global_load_b64 v[167:168], v[2:3], off offset:32
	global_load_b128 v[132:135], v[2:3], off offset:16
	v_add_f32_e32 v2, v11, v25
	v_add_f32_e32 v3, v7, v19
	s_wait_dscnt 0x0
	v_mul_f32_e32 v0, v21, v127
	s_delay_alu instid0(VALU_DEP_1) | instskip(SKIP_2) | instid1(VALU_DEP_2)
	v_fma_f32 v53, v20, v126, -v0
	v_mul_f32_e32 v20, v20, v127
	v_mul_f32_e32 v0, v23, v131
	v_fmac_f32_e32 v20, v21, v126
	s_delay_alu instid0(VALU_DEP_2) | instskip(SKIP_2) | instid1(VALU_DEP_2)
	v_fma_f32 v21, v22, v130, -v0
	v_mul_f32_e32 v22, v22, v131
	v_mul_f32_e32 v0, v43, v141
	v_fmac_f32_e32 v22, v23, v130
	s_delay_alu instid0(VALU_DEP_2) | instskip(SKIP_3) | instid1(VALU_DEP_2)
	v_fma_f32 v23, v42, v140, -v0
	s_wait_loadcnt 0x0
	v_mul_f32_e32 v0, v45, v133
	v_mul_f32_e32 v56, v44, v133
	v_fma_f32 v55, v44, v132, -v0
	s_delay_alu instid0(VALU_DEP_2) | instskip(SKIP_4) | instid1(VALU_DEP_2)
	v_fmac_f32_e32 v56, v45, v132
	ds_load_2addr_b64 v[42:45], v209 offset0:32 offset1:176
	s_wait_dscnt 0x0
	v_mul_f32_e32 v0, v43, v143
	v_mul_f32_e32 v58, v42, v143
	v_fma_f32 v57, v42, v142, -v0
	v_mul_f32_e32 v0, v45, v135
	v_mul_f32_e32 v60, v44, v135
	s_delay_alu instid0(VALU_DEP_4) | instskip(NEXT) | instid1(VALU_DEP_3)
	v_fmac_f32_e32 v58, v43, v142
	v_fma_f32 v59, v44, v134, -v0
	s_delay_alu instid0(VALU_DEP_3) | instskip(SKIP_4) | instid1(VALU_DEP_2)
	v_fmac_f32_e32 v60, v45, v134
	ds_load_2addr_b64 v[42:45], v241 offset0:96 offset1:240
	s_wait_dscnt 0x0
	v_mul_f32_e32 v0, v43, v166
	v_mul_f32_e32 v64, v44, v168
	v_fma_f32 v61, v42, v165, -v0
	v_mul_f32_e32 v62, v42, v166
	s_delay_alu instid0(VALU_DEP_3) | instskip(NEXT) | instid1(VALU_DEP_2)
	v_fmac_f32_e32 v64, v45, v167
	v_fmac_f32_e32 v62, v43, v165
	v_mul_f32_e32 v0, v45, v168
	ds_load_2addr_b64 v[45:48], v229 offset0:32 offset1:176
	v_fma_f32 v63, v44, v167, -v0
	v_dual_sub_f32 v39, v11, v25 :: v_dual_and_b32 v0, 0xffff, v39
	s_delay_alu instid0(VALU_DEP_1) | instskip(NEXT) | instid1(VALU_DEP_1)
	v_mul_u32_u24_e32 v0, 36, v0
	v_add_lshl_u32 v68, v0, v41, 3
	ds_load_2addr_b64 v[41:44], v203 offset1:144
	global_wb scope:SCOPE_SE
	s_wait_dscnt 0x0
	s_barrier_signal -1
	s_barrier_wait -1
	global_inv scope:SCOPE_SE
	v_add_f32_e32 v0, v41, v10
	v_sub_f32_e32 v10, v10, v24
	v_fma_f32 v41, -0.5, v1, v41
	s_delay_alu instid0(VALU_DEP_3) | instskip(SKIP_2) | instid1(VALU_DEP_4)
	v_add_f32_e32 v24, v0, v24
	v_add_f32_e32 v0, v42, v11
	v_fma_f32 v42, -0.5, v2, v42
	v_fmamk_f32 v66, v39, 0x3f5db3d7, v41
	v_fmac_f32_e32 v41, 0xbf5db3d7, v39
	s_delay_alu instid0(VALU_DEP_4) | instskip(SKIP_3) | instid1(VALU_DEP_4)
	v_dual_add_f32 v11, v0, v25 :: v_dual_add_f32 v0, v19, v12
	v_add_f32_e32 v25, v18, v28
	v_sub_f32_e32 v19, v19, v12
	v_dual_add_f32 v12, v3, v12 :: v_dual_fmamk_f32 v67, v10, 0xbf5db3d7, v42
	v_dual_fmac_f32 v7, -0.5, v0 :: v_dual_add_f32 v0, v6, v18
	v_sub_f32_e32 v18, v18, v28
	v_fmac_f32_e32 v6, -0.5, v25
	s_delay_alu instid0(VALU_DEP_4) | instskip(NEXT) | instid1(VALU_DEP_4)
	v_dual_fmac_f32 v42, 0x3f5db3d7, v10 :: v_dual_add_f32 v1, v11, v12
	v_add_f32_e32 v28, v0, v28
	s_delay_alu instid0(VALU_DEP_4) | instskip(NEXT) | instid1(VALU_DEP_4)
	v_fmamk_f32 v0, v18, 0xbf5db3d7, v7
	v_fmamk_f32 v3, v19, 0x3f5db3d7, v6
	v_fmac_f32_e32 v6, 0xbf5db3d7, v19
	v_fmac_f32_e32 v7, 0x3f5db3d7, v18
	s_delay_alu instid0(VALU_DEP_4) | instskip(NEXT) | instid1(VALU_DEP_3)
	v_mul_f32_e32 v25, 0x3f5db3d7, v0
	v_dual_mul_f32 v65, 0xbf5db3d7, v3 :: v_dual_mul_f32 v10, -0.5, v6
	s_delay_alu instid0(VALU_DEP_2) | instskip(NEXT) | instid1(VALU_DEP_2)
	v_fmac_f32_e32 v25, 0.5, v3
	v_dual_fmac_f32 v65, 0.5, v0 :: v_dual_fmac_f32 v10, 0x3f5db3d7, v7
	v_dual_mul_f32 v7, -0.5, v7 :: v_dual_add_f32 v0, v24, v28
	s_delay_alu instid0(VALU_DEP_3) | instskip(NEXT) | instid1(VALU_DEP_3)
	v_add_f32_e32 v2, v66, v25
	v_add_f32_e32 v3, v67, v65
	s_delay_alu instid0(VALU_DEP_3)
	v_fmac_f32_e32 v7, 0xbf5db3d7, v6
	v_sub_f32_e32 v6, v16, v26
	ds_store_2addr_b64 v68, v[0:1], v[2:3] offset1:6
	v_sub_f32_e32 v0, v24, v28
	v_dual_sub_f32 v1, v11, v12 :: v_dual_add_f32 v2, v41, v10
	v_dual_add_f32 v3, v42, v7 :: v_dual_add_f32 v12, v4, v13
	ds_store_2addr_b64 v68, v[2:3], v[0:1] offset0:12 offset1:18
	v_sub_f32_e32 v0, v66, v25
	v_dual_sub_f32 v1, v67, v65 :: v_dual_sub_f32 v2, v41, v10
	v_sub_f32_e32 v3, v42, v7
	v_sub_f32_e32 v10, v17, v27
	ds_store_2addr_b64 v68, v[0:1], v[2:3] offset0:24 offset1:30
	v_add_f32_e32 v1, v43, v16
	v_dual_add_f32 v3, v17, v27 :: v_dual_add_f32 v2, v16, v26
	v_mad_u16 v0, v34, 36, v35
	s_delay_alu instid0(VALU_DEP_3) | instskip(NEXT) | instid1(VALU_DEP_3)
	v_add_f32_e32 v7, v1, v26
	v_dual_add_f32 v1, v44, v17 :: v_dual_fmac_f32 v44, -0.5, v3
	v_add_f32_e32 v3, v9, v5
	v_fma_f32 v17, -0.5, v2, v43
	s_delay_alu instid0(VALU_DEP_3) | instskip(SKIP_1) | instid1(VALU_DEP_3)
	v_dual_add_f32 v11, v1, v27 :: v_dual_and_b32 v0, 0xffff, v0
	v_add_f32_e32 v1, v5, v14
	v_dual_sub_f32 v5, v5, v14 :: v_dual_fmamk_f32 v18, v10, 0x3f5db3d7, v17
	s_delay_alu instid0(VALU_DEP_3) | instskip(NEXT) | instid1(VALU_DEP_3)
	v_dual_fmamk_f32 v19, v6, 0xbf5db3d7, v44 :: v_dual_lshlrev_b32 v24, 3, v0
	v_fmac_f32_e32 v9, -0.5, v1
	v_add_f32_e32 v1, v8, v4
	v_sub_f32_e32 v4, v4, v13
	v_fmac_f32_e32 v8, -0.5, v12
	v_add_f32_e32 v12, v3, v14
	v_fmac_f32_e32 v17, 0xbf5db3d7, v10
	v_add_f32_e32 v13, v1, v13
	v_fmamk_f32 v1, v4, 0xbf5db3d7, v9
	v_fmamk_f32 v3, v5, 0x3f5db3d7, v8
	v_fmac_f32_e32 v8, 0xbf5db3d7, v5
	s_delay_alu instid0(VALU_DEP_4) | instskip(NEXT) | instid1(VALU_DEP_4)
	v_dual_fmac_f32 v9, 0x3f5db3d7, v4 :: v_dual_add_f32 v0, v7, v13
	v_mul_f32_e32 v14, 0x3f5db3d7, v1
	s_delay_alu instid0(VALU_DEP_4) | instskip(NEXT) | instid1(VALU_DEP_3)
	v_mul_f32_e32 v16, 0xbf5db3d7, v3
	v_dual_mul_f32 v4, -0.5, v8 :: v_dual_mul_f32 v5, -0.5, v9
	v_fmac_f32_e32 v44, 0x3f5db3d7, v6
	s_delay_alu instid0(VALU_DEP_4) | instskip(NEXT) | instid1(VALU_DEP_4)
	v_fmac_f32_e32 v14, 0.5, v3
	v_dual_fmac_f32 v16, 0.5, v1 :: v_dual_add_f32 v1, v11, v12
	s_delay_alu instid0(VALU_DEP_4) | instskip(NEXT) | instid1(VALU_DEP_3)
	v_fmac_f32_e32 v4, 0x3f5db3d7, v9
	v_dual_fmac_f32 v5, 0xbf5db3d7, v8 :: v_dual_add_f32 v2, v18, v14
	s_delay_alu instid0(VALU_DEP_3)
	v_dual_add_f32 v3, v19, v16 :: v_dual_add_f32 v8, v50, v54
	v_add_f32_e32 v9, v23, v61
	v_sub_f32_e32 v10, v23, v61
	ds_store_2addr_b64 v24, v[0:1], v[2:3] offset1:6
	v_sub_f32_e32 v0, v7, v13
	v_sub_f32_e32 v1, v11, v12
	v_dual_add_f32 v2, v17, v4 :: v_dual_add_f32 v3, v44, v5
	ds_store_2addr_b64 v24, v[2:3], v[0:1] offset0:12 offset1:18
	v_dual_sub_f32 v1, v44, v5 :: v_dual_sub_f32 v0, v17, v4
	v_dual_sub_f32 v2, v18, v14 :: v_dual_sub_f32 v3, v19, v16
	v_sub_f32_e32 v4, v53, v57
	ds_store_2addr_b64 v24, v[2:3], v[0:1] offset0:24 offset1:30
	v_add_f32_e32 v1, v45, v53
	v_dual_add_f32 v3, v20, v58 :: v_dual_add_f32 v2, v53, v57
	v_mad_u16 v0, v15, 36, v30
	s_delay_alu instid0(VALU_DEP_3) | instskip(SKIP_1) | instid1(VALU_DEP_4)
	v_dual_sub_f32 v6, v20, v58 :: v_dual_add_f32 v5, v1, v57
	v_add_f32_e32 v1, v46, v20
	v_fma_f32 v14, -0.5, v2, v45
	v_fma_f32 v15, -0.5, v3, v46
	v_add_f32_e32 v8, v8, v62
	s_delay_alu instid0(VALU_DEP_4) | instskip(SKIP_2) | instid1(VALU_DEP_3)
	v_dual_add_f32 v7, v1, v58 :: v_dual_and_b32 v0, 0xffff, v0
	v_add_f32_e32 v1, v54, v62
	v_fmamk_f32 v16, v6, 0x3f5db3d7, v14
	v_dual_fmamk_f32 v17, v4, 0xbf5db3d7, v15 :: v_dual_lshlrev_b32 v18, 3, v0
	s_delay_alu instid0(VALU_DEP_3) | instskip(SKIP_4) | instid1(VALU_DEP_4)
	v_dual_fmac_f32 v15, 0x3f5db3d7, v4 :: v_dual_fmac_f32 v50, -0.5, v1
	v_add_f32_e32 v1, v49, v23
	v_fmac_f32_e32 v49, -0.5, v9
	v_sub_f32_e32 v9, v54, v62
	v_fmac_f32_e32 v14, 0xbf5db3d7, v6
	v_dual_sub_f32 v6, v22, v60 :: v_dual_add_f32 v11, v1, v61
	v_fmamk_f32 v1, v10, 0xbf5db3d7, v50
	s_delay_alu instid0(VALU_DEP_4) | instskip(SKIP_2) | instid1(VALU_DEP_4)
	v_fmamk_f32 v12, v9, 0x3f5db3d7, v49
	v_fmac_f32_e32 v49, 0xbf5db3d7, v9
	v_fmac_f32_e32 v50, 0x3f5db3d7, v10
	v_dual_add_f32 v0, v5, v11 :: v_dual_mul_f32 v13, 0x3f5db3d7, v1
	s_delay_alu instid0(VALU_DEP_3) | instskip(SKIP_4) | instid1(VALU_DEP_3)
	v_dual_sub_f32 v9, v55, v63 :: v_dual_mul_f32 v4, -0.5, v49
	scratch_store_b32 off, v18, off offset:92 ; 4-byte Folded Spill
	v_fmac_f32_e32 v13, 0.5, v12
	v_mul_f32_e32 v12, 0xbf5db3d7, v12
	v_fmac_f32_e32 v4, 0x3f5db3d7, v50
	v_add_f32_e32 v2, v16, v13
	s_delay_alu instid0(VALU_DEP_3) | instskip(NEXT) | instid1(VALU_DEP_1)
	v_dual_fmac_f32 v12, 0.5, v1 :: v_dual_add_f32 v1, v7, v8
	v_add_f32_e32 v3, v17, v12
	ds_store_2addr_b64 v18, v[0:1], v[2:3] offset1:6
	v_dual_sub_f32 v0, v5, v11 :: v_dual_mul_f32 v5, -0.5, v50
	v_sub_f32_e32 v1, v7, v8
	v_add_f32_e32 v2, v14, v4
	s_delay_alu instid0(VALU_DEP_3) | instskip(NEXT) | instid1(VALU_DEP_1)
	v_dual_add_f32 v8, v55, v63 :: v_dual_fmac_f32 v5, 0xbf5db3d7, v49
	v_add_f32_e32 v3, v15, v5
	ds_store_2addr_b64 v18, v[2:3], v[0:1] offset0:12 offset1:18
	v_dual_sub_f32 v0, v16, v13 :: v_dual_sub_f32 v1, v17, v12
	v_dual_sub_f32 v2, v14, v4 :: v_dual_sub_f32 v3, v15, v5
	v_sub_f32_e32 v4, v21, v59
	ds_store_2addr_b64 v18, v[0:1], v[2:3] offset0:24 offset1:30
	v_add_f32_e32 v1, v47, v21
	v_dual_add_f32 v3, v22, v60 :: v_dual_add_f32 v2, v21, v59
	v_mad_u16 v0, v29, 36, v31
	s_delay_alu instid0(VALU_DEP_3) | instskip(NEXT) | instid1(VALU_DEP_3)
	v_add_f32_e32 v5, v1, v59
	v_dual_add_f32 v1, v48, v22 :: v_dual_fmac_f32 v48, -0.5, v3
	v_add_f32_e32 v3, v52, v56
	v_fma_f32 v14, -0.5, v2, v47
	v_and_b32_e32 v0, 0xffff, v0
	s_delay_alu instid0(VALU_DEP_4)
	v_add_f32_e32 v7, v1, v60
	v_add_f32_e32 v1, v56, v64
	;; [unrolled: 1-line block ×3, first 2 shown]
	v_fmamk_f32 v15, v6, 0x3f5db3d7, v14
	v_fmamk_f32 v16, v4, 0xbf5db3d7, v48
	v_lshlrev_b32_e32 v238, 3, v0
	v_dual_fmac_f32 v52, -0.5, v1 :: v_dual_add_f32 v1, v51, v55
	v_fmac_f32_e32 v51, -0.5, v8
	v_sub_f32_e32 v8, v56, v64
	v_fmac_f32_e32 v48, 0x3f5db3d7, v4
	v_fmac_f32_e32 v14, 0xbf5db3d7, v6
	v_add_f32_e32 v10, v1, v63
	v_fmamk_f32 v1, v9, 0xbf5db3d7, v52
	v_fmamk_f32 v3, v8, 0x3f5db3d7, v51
	v_fmac_f32_e32 v51, 0xbf5db3d7, v8
	v_fmac_f32_e32 v52, 0x3f5db3d7, v9
	v_add_f32_e32 v0, v5, v10
	v_mul_f32_e32 v12, 0x3f5db3d7, v1
	v_mul_f32_e32 v13, 0xbf5db3d7, v3
	v_mul_f32_e32 v4, -0.5, v51
	s_delay_alu instid0(VALU_DEP_2) | instskip(NEXT) | instid1(VALU_DEP_2)
	v_dual_fmac_f32 v12, 0.5, v3 :: v_dual_fmac_f32 v13, 0.5, v1
	v_dual_add_f32 v1, v7, v11 :: v_dual_fmac_f32 v4, 0x3f5db3d7, v52
	s_delay_alu instid0(VALU_DEP_2) | instskip(SKIP_3) | instid1(VALU_DEP_2)
	v_dual_add_f32 v2, v15, v12 :: v_dual_add_f32 v3, v16, v13
	ds_store_2addr_b64 v238, v[0:1], v[2:3] offset1:6
	v_dual_sub_f32 v0, v5, v10 :: v_dual_mul_f32 v5, -0.5, v52
	v_dual_sub_f32 v1, v7, v11 :: v_dual_add_f32 v2, v14, v4
	v_fmac_f32_e32 v5, 0xbf5db3d7, v51
	s_clause 0x1
	scratch_store_b32 off, v68, off offset:100
	scratch_store_b32 off, v24, off offset:96
	v_add_f32_e32 v3, v48, v5
	ds_store_2addr_b64 v238, v[2:3], v[0:1] offset0:12 offset1:18
	v_dual_sub_f32 v1, v48, v5 :: v_dual_sub_f32 v0, v14, v4
	v_dual_sub_f32 v2, v15, v12 :: v_dual_sub_f32 v3, v16, v13
	ds_store_2addr_b64 v238, v[2:3], v[0:1] offset0:24 offset1:30
	v_mul_u32_u24_e32 v0, 0xe38f, v32
	v_mul_lo_u16 v1, v33, 57
	global_wb scope:SCOPE_SE
	s_wait_storecnt_dscnt 0x0
	s_barrier_signal -1
	s_barrier_wait -1
	v_lshrrev_b32_e32 v39, 21, v0
	v_lshrrev_b16 v42, 11, v1
	global_inv scope:SCOPE_SE
	v_mul_lo_u16 v0, v39, 36
	s_delay_alu instid0(VALU_DEP_1) | instskip(SKIP_1) | instid1(VALU_DEP_2)
	v_sub_nc_u16 v41, v91, v0
	v_mul_lo_u16 v0, v42, 36
	v_mul_lo_u16 v1, v41, 40
	s_delay_alu instid0(VALU_DEP_2) | instskip(NEXT) | instid1(VALU_DEP_2)
	v_sub_nc_u16 v0, v90, v0
	v_and_b32_e32 v1, 0xffff, v1
	s_delay_alu instid0(VALU_DEP_2) | instskip(NEXT) | instid1(VALU_DEP_2)
	v_and_b32_e32 v43, 0xff, v0
	v_add_co_u32 v32, s12, s10, v1
	s_delay_alu instid0(VALU_DEP_2)
	v_mad_co_u64_u32 v[34:35], null, v43, 40, s[10:11]
	s_wait_alu 0xf1ff
	v_add_co_ci_u32_e64 v33, null, s11, 0, s12
	s_clause 0x3
	global_load_b64 v[177:178], v[34:35], off offset:272
	global_load_b128 v[76:79], v[34:35], off offset:240
	global_load_b128 v[56:59], v[34:35], off offset:256
	;; [unrolled: 1-line block ×3, first 2 shown]
	ds_load_2addr_b64 v[44:47], v162 offset0:64 offset1:208
	s_wait_loadcnt_dscnt 0x200
	v_mul_f32_e32 v0, v45, v77
	v_mul_f32_e32 v5, v44, v77
	s_wait_loadcnt 0x0
	v_mul_f32_e32 v7, v46, v65
	s_delay_alu instid0(VALU_DEP_3) | instskip(NEXT) | instid1(VALU_DEP_3)
	v_fma_f32 v4, v44, v76, -v0
	v_dual_mul_f32 v0, v47, v65 :: v_dual_fmac_f32 v5, v45, v76
	s_delay_alu instid0(VALU_DEP_3) | instskip(NEXT) | instid1(VALU_DEP_2)
	v_fmac_f32_e32 v7, v47, v64
	v_fma_f32 v6, v46, v64, -v0
	ds_load_2addr_b64 v[44:47], v219 offset1:144
	s_wait_dscnt 0x0
	v_mul_f32_e32 v0, v45, v79
	v_mul_f32_e32 v9, v44, v79
	;; [unrolled: 1-line block ×3, first 2 shown]
	s_delay_alu instid0(VALU_DEP_3) | instskip(NEXT) | instid1(VALU_DEP_3)
	v_fma_f32 v8, v44, v78, -v0
	v_dual_mul_f32 v0, v47, v67 :: v_dual_fmac_f32 v9, v45, v78
	s_delay_alu instid0(VALU_DEP_3) | instskip(NEXT) | instid1(VALU_DEP_2)
	v_fmac_f32_e32 v11, v47, v66
	v_fma_f32 v10, v46, v66, -v0
	ds_load_2addr_b64 v[44:47], v213 offset0:64 offset1:208
	s_clause 0x1
	global_load_b64 v[183:184], v[32:33], off offset:272
	global_load_b128 v[60:63], v[32:33], off offset:256
	ds_load_2addr_b64 v[32:35], v212 offset1:144
	s_wait_dscnt 0x1
	v_mul_f32_e32 v13, v44, v57
	s_wait_dscnt 0x0
	v_mul_f32_e32 v17, v32, v59
	s_delay_alu instid0(VALU_DEP_2) | instskip(NEXT) | instid1(VALU_DEP_2)
	v_fmac_f32_e32 v13, v45, v56
	v_fmac_f32_e32 v17, v33, v58
	s_delay_alu instid0(VALU_DEP_1) | instskip(SKIP_3) | instid1(VALU_DEP_2)
	v_sub_f32_e32 v93, v9, v17
	s_wait_loadcnt 0x0
	v_mul_f32_e32 v15, v46, v61
	v_mul_f32_e32 v19, v34, v63
	v_dual_fmac_f32 v15, v47, v60 :: v_dual_mul_f32 v0, v45, v57
	s_delay_alu instid0(VALU_DEP_2) | instskip(NEXT) | instid1(VALU_DEP_2)
	v_fmac_f32_e32 v19, v35, v62
	v_fma_f32 v12, v44, v56, -v0
	v_mul_f32_e32 v0, v47, v61
	s_delay_alu instid0(VALU_DEP_1) | instskip(SKIP_1) | instid1(VALU_DEP_1)
	v_fma_f32 v14, v46, v60, -v0
	v_mul_f32_e32 v0, v33, v59
	v_fma_f32 v16, v32, v58, -v0
	v_mul_f32_e32 v0, v35, v63
	s_delay_alu instid0(VALU_DEP_1) | instskip(SKIP_4) | instid1(VALU_DEP_2)
	v_fma_f32 v18, v34, v62, -v0
	ds_load_2addr_b64 v[32:35], v255 offset0:64 offset1:208
	s_wait_dscnt 0x0
	v_mul_f32_e32 v23, v34, v184
	v_mul_f32_e32 v21, v32, v178
	v_dual_fmac_f32 v23, v35, v183 :: v_dual_mul_f32 v0, v33, v178
	s_delay_alu instid0(VALU_DEP_2) | instskip(NEXT) | instid1(VALU_DEP_2)
	v_fmac_f32_e32 v21, v33, v177
	v_fma_f32 v20, v32, v177, -v0
	v_mul_f32_e32 v0, v35, v184
	s_delay_alu instid0(VALU_DEP_1) | instskip(SKIP_1) | instid1(VALU_DEP_1)
	v_fma_f32 v22, v34, v183, -v0
	v_mul_u32_u24_e32 v0, 0xe38f, v38
	v_lshrrev_b32_e32 v24, 21, v0
	s_delay_alu instid0(VALU_DEP_1) | instskip(NEXT) | instid1(VALU_DEP_1)
	v_mul_lo_u16 v0, v24, 36
	v_sub_nc_u16 v25, v36, v0
	v_mul_u32_u24_e32 v0, 0xe38f, v37
	s_delay_alu instid0(VALU_DEP_1) | instskip(NEXT) | instid1(VALU_DEP_1)
	v_lshrrev_b32_e32 v26, 21, v0
	v_mul_lo_u16 v0, v26, 36
	s_delay_alu instid0(VALU_DEP_1) | instskip(SKIP_1) | instid1(VALU_DEP_2)
	v_sub_nc_u16 v27, v40, v0
	v_mul_lo_u16 v0, v25, 40
	v_mul_lo_u16 v1, v27, 40
	s_delay_alu instid0(VALU_DEP_2) | instskip(NEXT) | instid1(VALU_DEP_2)
	v_and_b32_e32 v0, 0xffff, v0
	v_and_b32_e32 v2, 0xffff, v1
	s_delay_alu instid0(VALU_DEP_2) | instskip(SKIP_2) | instid1(VALU_DEP_3)
	v_add_co_u32 v0, s12, s10, v0
	s_wait_alu 0xf1ff
	v_add_co_ci_u32_e64 v1, null, s11, 0, s12
	v_add_co_u32 v2, s12, s10, v2
	s_wait_alu 0xf1ff
	v_add_co_ci_u32_e64 v3, null, s11, 0, s12
	s_clause 0x2
	global_load_b64 v[189:190], v[0:1], off offset:272
	global_load_b128 v[84:87], v[0:1], off offset:240
	global_load_b128 v[68:71], v[0:1], off offset:256
	ds_load_2addr_b64 v[32:35], v216 offset0:96 offset1:240
	v_add_f32_e32 v1, v8, v16
	global_load_b128 v[80:83], v[2:3], off offset:240
	s_wait_loadcnt_dscnt 0x200
	v_mul_f32_e32 v0, v33, v85
	v_mul_f32_e32 v29, v32, v85
	s_wait_loadcnt 0x0
	v_mul_f32_e32 v31, v34, v81
	s_delay_alu instid0(VALU_DEP_3) | instskip(NEXT) | instid1(VALU_DEP_3)
	v_fma_f32 v28, v32, v84, -v0
	v_dual_mul_f32 v0, v35, v81 :: v_dual_fmac_f32 v29, v33, v84
	s_delay_alu instid0(VALU_DEP_3) | instskip(NEXT) | instid1(VALU_DEP_2)
	v_fmac_f32_e32 v31, v35, v80
	v_fma_f32 v30, v34, v80, -v0
	ds_load_2addr_b64 v[32:35], v159 offset0:32 offset1:176
	s_wait_dscnt 0x0
	v_mul_f32_e32 v0, v33, v87
	v_mul_f32_e32 v37, v32, v87
	;; [unrolled: 1-line block ×3, first 2 shown]
	s_delay_alu instid0(VALU_DEP_3) | instskip(NEXT) | instid1(VALU_DEP_3)
	v_fma_f32 v36, v32, v86, -v0
	v_dual_mul_f32 v0, v35, v83 :: v_dual_fmac_f32 v37, v33, v86
	s_delay_alu instid0(VALU_DEP_3) | instskip(NEXT) | instid1(VALU_DEP_2)
	v_fmac_f32_e32 v46, v35, v82
	v_fma_f32 v38, v34, v82, -v0
	ds_load_2addr_b64 v[32:35], v156 offset0:96 offset1:240
	s_clause 0x1
	global_load_b64 v[193:194], v[2:3], off offset:272
	global_load_b128 v[72:75], v[2:3], off offset:256
	v_add_f32_e32 v2, v9, v17
	v_add_f32_e32 v3, v5, v13
	s_wait_dscnt 0x0
	v_mul_f32_e32 v0, v33, v69
	v_mul_f32_e32 v48, v32, v69
	s_delay_alu instid0(VALU_DEP_2) | instskip(NEXT) | instid1(VALU_DEP_2)
	v_fma_f32 v47, v32, v68, -v0
	v_fmac_f32_e32 v48, v33, v68
	s_wait_loadcnt 0x0
	v_mul_f32_e32 v0, v35, v73
	v_mul_f32_e32 v50, v34, v73
	s_delay_alu instid0(VALU_DEP_2) | instskip(NEXT) | instid1(VALU_DEP_2)
	v_fma_f32 v49, v34, v72, -v0
	v_fmac_f32_e32 v50, v35, v72
	ds_load_2addr_b64 v[32:35], v209 offset0:32 offset1:176
	s_wait_dscnt 0x0
	v_mul_f32_e32 v0, v33, v71
	v_mul_f32_e32 v52, v32, v71
	s_delay_alu instid0(VALU_DEP_2) | instskip(NEXT) | instid1(VALU_DEP_2)
	v_fma_f32 v51, v32, v70, -v0
	v_fmac_f32_e32 v52, v33, v70
	v_mul_f32_e32 v0, v35, v75
	v_mul_f32_e32 v54, v34, v75
	s_delay_alu instid0(VALU_DEP_2) | instskip(NEXT) | instid1(VALU_DEP_2)
	v_fma_f32 v53, v34, v74, -v0
	v_fmac_f32_e32 v54, v35, v74
	ds_load_2addr_b64 v[32:35], v241 offset0:96 offset1:240
	s_wait_dscnt 0x0
	v_mul_f32_e32 v0, v33, v190
	v_mul_f32_e32 v92, v34, v194
	s_delay_alu instid0(VALU_DEP_2) | instskip(SKIP_1) | instid1(VALU_DEP_3)
	v_fma_f32 v55, v32, v189, -v0
	v_mul_f32_e32 v88, v32, v190
	v_fmac_f32_e32 v92, v35, v193
	s_delay_alu instid0(VALU_DEP_2) | instskip(SKIP_1) | instid1(VALU_DEP_1)
	v_fmac_f32_e32 v88, v33, v189
	v_mul_f32_e32 v0, v35, v194
	v_fma_f32 v89, v34, v193, -v0
	ds_load_2addr_b64 v[32:35], v203 offset1:144
	v_and_b32_e32 v0, 0xffff, v42
	s_delay_alu instid0(VALU_DEP_1) | instskip(NEXT) | instid1(VALU_DEP_1)
	v_mul_u32_u24_e32 v0, 0xd8, v0
	v_add_lshl_u32 v99, v0, v43, 3
	ds_load_2addr_b64 v[42:45], v229 offset0:32 offset1:176
	global_wb scope:SCOPE_SE
	s_wait_dscnt 0x0
	s_barrier_signal -1
	s_barrier_wait -1
	global_inv scope:SCOPE_SE
	scratch_store_b32 off, v97, off offset:76 ; 4-byte Folded Spill
	v_add_f32_e32 v0, v32, v8
	v_sub_f32_e32 v8, v8, v16
	v_fma_f32 v32, -0.5, v1, v32
	s_delay_alu instid0(VALU_DEP_3) | instskip(SKIP_2) | instid1(VALU_DEP_4)
	v_add_f32_e32 v16, v0, v16
	v_add_f32_e32 v0, v33, v9
	v_fma_f32 v33, -0.5, v2, v33
	v_fmamk_f32 v95, v93, 0x3f5db3d7, v32
	v_fmac_f32_e32 v32, 0xbf5db3d7, v93
	s_delay_alu instid0(VALU_DEP_4) | instskip(SKIP_3) | instid1(VALU_DEP_3)
	v_add_f32_e32 v9, v0, v17
	v_dual_add_f32 v0, v13, v21 :: v_dual_add_f32 v17, v12, v20
	v_dual_sub_f32 v13, v13, v21 :: v_dual_fmamk_f32 v96, v8, 0xbf5db3d7, v33
	v_fmac_f32_e32 v33, 0x3f5db3d7, v8
	v_fmac_f32_e32 v5, -0.5, v0
	v_add_f32_e32 v0, v4, v12
	v_sub_f32_e32 v12, v12, v20
	v_fmac_f32_e32 v4, -0.5, v17
	s_delay_alu instid0(VALU_DEP_3) | instskip(NEXT) | instid1(VALU_DEP_3)
	v_dual_add_f32 v17, v3, v21 :: v_dual_add_f32 v20, v0, v20
	v_fmamk_f32 v0, v12, 0xbf5db3d7, v5
	s_delay_alu instid0(VALU_DEP_3)
	v_fmamk_f32 v3, v13, 0x3f5db3d7, v4
	v_fmac_f32_e32 v4, 0xbf5db3d7, v13
	v_fmac_f32_e32 v5, 0x3f5db3d7, v12
	v_add_f32_e32 v1, v9, v17
	v_mul_f32_e32 v21, 0x3f5db3d7, v0
	v_mul_f32_e32 v94, 0xbf5db3d7, v3
	s_delay_alu instid0(VALU_DEP_2) | instskip(NEXT) | instid1(VALU_DEP_2)
	v_dual_mul_f32 v8, -0.5, v4 :: v_dual_fmac_f32 v21, 0.5, v3
	v_fmac_f32_e32 v94, 0.5, v0
	s_delay_alu instid0(VALU_DEP_2) | instskip(SKIP_1) | instid1(VALU_DEP_3)
	v_fmac_f32_e32 v8, 0x3f5db3d7, v5
	v_dual_mul_f32 v5, -0.5, v5 :: v_dual_add_f32 v0, v16, v20
	v_dual_add_f32 v2, v95, v21 :: v_dual_add_f32 v3, v96, v94
	s_delay_alu instid0(VALU_DEP_2)
	v_dual_fmac_f32 v5, 0xbf5db3d7, v4 :: v_dual_sub_f32 v4, v10, v18
	ds_store_2addr_b64 v99, v[0:1], v[2:3] offset1:36
	v_dual_sub_f32 v0, v16, v20 :: v_dual_sub_f32 v1, v9, v17
	v_dual_add_f32 v2, v32, v8 :: v_dual_add_f32 v3, v33, v5
	ds_store_2addr_b64 v99, v[2:3], v[0:1] offset0:72 offset1:108
	v_dual_sub_f32 v0, v95, v21 :: v_dual_sub_f32 v1, v96, v94
	v_dual_sub_f32 v2, v32, v8 :: v_dual_sub_f32 v3, v33, v5
	v_sub_f32_e32 v8, v11, v19
	ds_store_2addr_b64 v99, v[0:1], v[2:3] offset0:144 offset1:180
	v_add_f32_e32 v1, v34, v10
	v_dual_add_f32 v2, v10, v18 :: v_dual_add_f32 v3, v11, v19
	v_add_f32_e32 v10, v14, v22
	v_mad_u16 v0, 0xd8, v39, v41
	s_delay_alu instid0(VALU_DEP_4)
	v_add_f32_e32 v5, v1, v18
	v_add_f32_e32 v1, v35, v11
	v_fmac_f32_e32 v35, -0.5, v3
	v_add_f32_e32 v3, v7, v15
	v_sub_f32_e32 v11, v14, v22
	v_fma_f32 v16, -0.5, v2, v34
	v_add_f32_e32 v9, v1, v19
	v_add_f32_e32 v1, v15, v23
	v_dual_add_f32 v13, v3, v23 :: v_dual_and_b32 v0, 0xffff, v0
	s_delay_alu instid0(VALU_DEP_4) | instskip(SKIP_1) | instid1(VALU_DEP_4)
	v_fmamk_f32 v17, v8, 0x3f5db3d7, v16
	v_fmamk_f32 v18, v4, 0xbf5db3d7, v35
	v_fmac_f32_e32 v7, -0.5, v1
	v_add_f32_e32 v1, v6, v14
	v_fmac_f32_e32 v6, -0.5, v10
	v_dual_sub_f32 v10, v15, v23 :: v_dual_lshlrev_b32 v19, 3, v0
	s_delay_alu instid0(VALU_DEP_3) | instskip(SKIP_1) | instid1(VALU_DEP_3)
	v_dual_fmac_f32 v35, 0x3f5db3d7, v4 :: v_dual_add_f32 v12, v1, v22
	v_fmamk_f32 v1, v11, 0xbf5db3d7, v7
	v_fmamk_f32 v3, v10, 0x3f5db3d7, v6
	v_fmac_f32_e32 v6, 0xbf5db3d7, v10
	s_delay_alu instid0(VALU_DEP_4) | instskip(NEXT) | instid1(VALU_DEP_4)
	v_dual_fmac_f32 v7, 0x3f5db3d7, v11 :: v_dual_add_f32 v0, v5, v12
	v_mul_f32_e32 v14, 0x3f5db3d7, v1
	s_delay_alu instid0(VALU_DEP_3) | instskip(SKIP_2) | instid1(VALU_DEP_3)
	v_dual_mul_f32 v15, 0xbf5db3d7, v3 :: v_dual_mul_f32 v4, -0.5, v6
	v_fmac_f32_e32 v16, 0xbf5db3d7, v8
	v_sub_f32_e32 v10, v47, v55
	v_dual_fmac_f32 v14, 0.5, v3 :: v_dual_fmac_f32 v15, 0.5, v1
	s_delay_alu instid0(VALU_DEP_4) | instskip(NEXT) | instid1(VALU_DEP_2)
	v_dual_add_f32 v1, v9, v13 :: v_dual_fmac_f32 v4, 0x3f5db3d7, v7
	v_dual_add_f32 v2, v17, v14 :: v_dual_add_f32 v3, v18, v15
	ds_store_2addr_b64 v19, v[0:1], v[2:3] offset1:36
	v_dual_sub_f32 v0, v5, v12 :: v_dual_mul_f32 v5, -0.5, v7
	v_dual_sub_f32 v1, v9, v13 :: v_dual_add_f32 v2, v16, v4
	v_add_f32_e32 v9, v47, v55
	s_delay_alu instid0(VALU_DEP_3) | instskip(NEXT) | instid1(VALU_DEP_1)
	v_fmac_f32_e32 v5, 0xbf5db3d7, v6
	v_dual_add_f32 v3, v35, v5 :: v_dual_add_f32 v8, v29, v48
	ds_store_2addr_b64 v19, v[2:3], v[0:1] offset0:72 offset1:108
	v_dual_sub_f32 v1, v35, v5 :: v_dual_sub_f32 v0, v16, v4
	v_dual_sub_f32 v2, v17, v14 :: v_dual_sub_f32 v3, v18, v15
	v_sub_f32_e32 v4, v36, v51
	ds_store_2addr_b64 v19, v[2:3], v[0:1] offset0:144 offset1:180
	v_dual_add_f32 v1, v42, v36 :: v_dual_add_f32 v2, v36, v51
	v_mad_u16 v0, 0xd8, v24, v25
	s_delay_alu instid0(VALU_DEP_2) | instskip(SKIP_1) | instid1(VALU_DEP_4)
	v_add_f32_e32 v5, v1, v51
	v_add_f32_e32 v1, v43, v37
	v_fma_f32 v14, -0.5, v2, v42
	s_delay_alu instid0(VALU_DEP_4) | instskip(NEXT) | instid1(VALU_DEP_3)
	v_and_b32_e32 v0, 0xffff, v0
	v_add_f32_e32 v7, v1, v52
	v_add_f32_e32 v1, v48, v88
	v_add_f32_e32 v3, v37, v52
	v_sub_f32_e32 v6, v37, v52
	s_delay_alu instid0(VALU_DEP_3) | instskip(SKIP_1) | instid1(VALU_DEP_4)
	v_dual_fmac_f32 v29, -0.5, v1 :: v_dual_lshlrev_b32 v18, 3, v0
	v_dual_add_f32 v1, v28, v47 :: v_dual_fmac_f32 v28, -0.5, v9
	v_fma_f32 v15, -0.5, v3, v43
	s_delay_alu instid0(VALU_DEP_4) | instskip(NEXT) | instid1(VALU_DEP_3)
	v_fmamk_f32 v16, v6, 0x3f5db3d7, v14
	v_dual_fmac_f32 v14, 0xbf5db3d7, v6 :: v_dual_add_f32 v11, v1, v55
	v_fmamk_f32 v1, v10, 0xbf5db3d7, v29
	v_sub_f32_e32 v9, v48, v88
	v_add_f32_e32 v8, v8, v88
	s_delay_alu instid0(VALU_DEP_4) | instskip(NEXT) | instid1(VALU_DEP_3)
	v_dual_fmamk_f32 v17, v4, 0xbf5db3d7, v15 :: v_dual_add_f32 v0, v5, v11
	v_dual_mul_f32 v13, 0x3f5db3d7, v1 :: v_dual_fmamk_f32 v12, v9, 0x3f5db3d7, v28
	v_fmac_f32_e32 v28, 0xbf5db3d7, v9
	v_fmac_f32_e32 v29, 0x3f5db3d7, v10
	;; [unrolled: 1-line block ×3, first 2 shown]
	v_sub_f32_e32 v9, v49, v89
	v_fmac_f32_e32 v13, 0.5, v12
	v_mul_f32_e32 v12, 0xbf5db3d7, v12
	v_mul_f32_e32 v4, -0.5, v28
	v_dual_sub_f32 v6, v46, v54 :: v_dual_mov_b32 v47, v213
	s_delay_alu instid0(VALU_DEP_4) | instskip(NEXT) | instid1(VALU_DEP_4)
	v_add_f32_e32 v2, v16, v13
	v_dual_fmac_f32 v12, 0.5, v1 :: v_dual_add_f32 v1, v7, v8
	s_delay_alu instid0(VALU_DEP_1) | instskip(SKIP_4) | instid1(VALU_DEP_3)
	v_dual_fmac_f32 v4, 0x3f5db3d7, v29 :: v_dual_add_f32 v3, v17, v12
	ds_store_2addr_b64 v18, v[0:1], v[2:3] offset1:36
	v_dual_sub_f32 v0, v5, v11 :: v_dual_mul_f32 v5, -0.5, v29
	v_sub_f32_e32 v1, v7, v8
	v_add_f32_e32 v2, v14, v4
	v_dual_add_f32 v8, v49, v89 :: v_dual_fmac_f32 v5, 0xbf5db3d7, v28
	s_delay_alu instid0(VALU_DEP_1)
	v_add_f32_e32 v3, v15, v5
	ds_store_2addr_b64 v18, v[2:3], v[0:1] offset0:72 offset1:108
	v_dual_sub_f32 v0, v16, v13 :: v_dual_sub_f32 v1, v17, v12
	v_dual_sub_f32 v2, v14, v4 :: v_dual_sub_f32 v3, v15, v5
	v_sub_f32_e32 v4, v38, v53
	ds_store_2addr_b64 v18, v[0:1], v[2:3] offset0:144 offset1:180
	v_add_f32_e32 v1, v44, v38
	v_add_f32_e32 v3, v46, v54
	;; [unrolled: 1-line block ×3, first 2 shown]
	v_mad_u16 v0, 0xd8, v26, v27
	s_delay_alu instid0(VALU_DEP_4) | instskip(SKIP_4) | instid1(VALU_DEP_4)
	v_add_f32_e32 v5, v1, v53
	v_add_f32_e32 v1, v45, v46
	v_fmac_f32_e32 v45, -0.5, v3
	v_add_f32_e32 v3, v31, v50
	v_fma_f32 v14, -0.5, v2, v44
	v_dual_add_f32 v7, v1, v54 :: v_dual_and_b32 v0, 0xffff, v0
	v_add_f32_e32 v1, v50, v92
	s_delay_alu instid0(VALU_DEP_4) | instskip(NEXT) | instid1(VALU_DEP_4)
	v_add_f32_e32 v11, v3, v92
	v_fmamk_f32 v15, v6, 0x3f5db3d7, v14
	s_delay_alu instid0(VALU_DEP_4) | instskip(NEXT) | instid1(VALU_DEP_4)
	v_dual_fmamk_f32 v16, v4, 0xbf5db3d7, v45 :: v_dual_lshlrev_b32 v17, 3, v0
	v_fmac_f32_e32 v31, -0.5, v1
	v_dual_add_f32 v1, v30, v49 :: v_dual_fmac_f32 v30, -0.5, v8
	v_sub_f32_e32 v8, v50, v92
	v_fmac_f32_e32 v45, 0x3f5db3d7, v4
	v_fmac_f32_e32 v14, 0xbf5db3d7, v6
	s_delay_alu instid0(VALU_DEP_4) | instskip(SKIP_3) | instid1(VALU_DEP_4)
	v_add_f32_e32 v10, v1, v89
	v_fmamk_f32 v1, v9, 0xbf5db3d7, v31
	v_fmamk_f32 v3, v8, 0x3f5db3d7, v30
	v_fmac_f32_e32 v30, 0xbf5db3d7, v8
	v_dual_fmac_f32 v31, 0x3f5db3d7, v9 :: v_dual_add_f32 v0, v5, v10
	s_delay_alu instid0(VALU_DEP_4) | instskip(NEXT) | instid1(VALU_DEP_3)
	v_mul_f32_e32 v12, 0x3f5db3d7, v1
	v_dual_mul_f32 v13, 0xbf5db3d7, v3 :: v_dual_mul_f32 v4, -0.5, v30
	v_mad_co_u64_u32 v[88:89], null, v97, 24, s[10:11]
	s_delay_alu instid0(VALU_DEP_2) | instskip(SKIP_1) | instid1(VALU_DEP_4)
	v_dual_fmac_f32 v12, 0.5, v3 :: v_dual_fmac_f32 v13, 0.5, v1
	v_add_f32_e32 v1, v7, v11
	v_fmac_f32_e32 v4, 0x3f5db3d7, v31
	s_clause 0x3
	scratch_store_b32 off, v99, off offset:116
	scratch_store_b32 off, v19, off offset:112
	;; [unrolled: 1-line block ×4, first 2 shown]
	v_dual_add_f32 v2, v15, v12 :: v_dual_add_f32 v3, v16, v13
	ds_store_2addr_b64 v17, v[0:1], v[2:3] offset1:36
	v_dual_sub_f32 v0, v5, v10 :: v_dual_mul_f32 v5, -0.5, v31
	v_dual_sub_f32 v1, v7, v11 :: v_dual_add_f32 v2, v14, v4
	s_delay_alu instid0(VALU_DEP_2) | instskip(NEXT) | instid1(VALU_DEP_1)
	v_fmac_f32_e32 v5, 0xbf5db3d7, v30
	v_add_f32_e32 v3, v45, v5
	ds_store_2addr_b64 v17, v[2:3], v[0:1] offset0:72 offset1:108
	v_dual_sub_f32 v1, v45, v5 :: v_dual_sub_f32 v0, v14, v4
	v_dual_sub_f32 v2, v15, v12 :: v_dual_sub_f32 v3, v16, v13
	v_add_nc_u32_e32 v45, 0x1e00, v203
	ds_store_2addr_b64 v17, v[2:3], v[0:1] offset0:144 offset1:180
	v_add_nc_u32_e32 v0, 0xffffffb8, v97
	global_wb scope:SCOPE_SE
	s_wait_storecnt_dscnt 0x0
	s_barrier_signal -1
	s_barrier_wait -1
	global_inv scope:SCOPE_SE
	v_cndmask_b32_e32 v92, v0, v91, vcc_lo
	s_clause 0x1
	global_load_b64 v[160:161], v[88:89], off offset:1696
	global_load_b128 v[116:119], v[88:89], off offset:1680
	ds_load_2addr_b64 v[41:44], v216 offset0:96 offset1:240
	v_mul_i32_i24_e32 v0, 24, v92
	v_mul_hi_i32_i24_e32 v1, 24, v92
	s_delay_alu instid0(VALU_DEP_2) | instskip(SKIP_1) | instid1(VALU_DEP_2)
	v_add_co_u32 v0, vcc_lo, s10, v0
	s_wait_alu 0xfffd
	v_add_co_ci_u32_e32 v1, vcc_lo, s11, v1, vcc_lo
	s_clause 0x1
	global_load_b64 v[157:158], v[0:1], off offset:1696
	global_load_b128 v[120:123], v[0:1], off offset:1680
	v_cmp_lt_u16_e32 vcc_lo, 0x47, v90
	s_wait_loadcnt_dscnt 0x200
	v_mul_f32_e32 v2, v42, v117
	v_mul_f32_e32 v5, v41, v117
	s_delay_alu instid0(VALU_DEP_2) | instskip(SKIP_1) | instid1(VALU_DEP_2)
	v_fma_f32 v4, v41, v116, -v2
	s_wait_loadcnt 0x0
	v_dual_fmac_f32 v5, v42, v116 :: v_dual_mul_f32 v0, v44, v121
	v_mul_f32_e32 v9, v43, v121
	s_delay_alu instid0(VALU_DEP_2) | instskip(NEXT) | instid1(VALU_DEP_2)
	v_fma_f32 v8, v43, v120, -v0
	v_fmac_f32_e32 v9, v44, v120
	ds_load_2addr_b64 v[41:44], v213 offset0:64 offset1:208
	s_wait_dscnt 0x0
	v_mul_f32_e32 v0, v42, v119
	v_mul_f32_e32 v7, v41, v119
	v_mul_f32_e32 v11, v43, v123
	s_delay_alu instid0(VALU_DEP_3) | instskip(NEXT) | instid1(VALU_DEP_3)
	v_fma_f32 v6, v41, v118, -v0
	v_dual_mul_f32 v0, v44, v123 :: v_dual_fmac_f32 v7, v42, v118
	s_delay_alu instid0(VALU_DEP_3) | instskip(NEXT) | instid1(VALU_DEP_2)
	v_fmac_f32_e32 v11, v44, v122
	v_fma_f32 v10, v43, v122, -v0
	ds_load_2addr_b64 v[41:44], v209 offset0:32 offset1:176
	s_clause 0x1
	global_load_b64 v[173:174], v[88:89], off offset:3424
	global_load_b128 v[169:172], v[88:89], off offset:3408
	ds_load_2addr_b64 v[48:51], v219 offset1:144
	s_wait_dscnt 0x1
	v_mul_f32_e32 v0, v42, v161
	v_mul_f32_e32 v13, v41, v161
	;; [unrolled: 1-line block ×3, first 2 shown]
	s_delay_alu instid0(VALU_DEP_3) | instskip(NEXT) | instid1(VALU_DEP_3)
	v_fma_f32 v12, v41, v160, -v0
	v_dual_mul_f32 v0, v44, v158 :: v_dual_fmac_f32 v13, v42, v160
	s_delay_alu instid0(VALU_DEP_3) | instskip(NEXT) | instid1(VALU_DEP_2)
	v_fmac_f32_e32 v15, v44, v157
	v_fma_f32 v14, v43, v157, -v0
	v_lshrrev_b16 v0, 3, v40
	s_delay_alu instid0(VALU_DEP_1) | instskip(NEXT) | instid1(VALU_DEP_1)
	v_and_b32_e32 v0, 0xffff, v0
	v_mul_u32_u24_e32 v0, 0x12f7, v0
	s_delay_alu instid0(VALU_DEP_1) | instskip(NEXT) | instid1(VALU_DEP_1)
	v_lshrrev_b32_e32 v0, 17, v0
	v_mul_lo_u16 v0, 0xd8, v0
	s_delay_alu instid0(VALU_DEP_1) | instskip(NEXT) | instid1(VALU_DEP_1)
	v_sub_nc_u16 v93, v40, v0
	v_mul_lo_u16 v0, v93, 24
	s_delay_alu instid0(VALU_DEP_1) | instskip(NEXT) | instid1(VALU_DEP_1)
	v_and_b32_e32 v0, 0xffff, v0
	v_add_co_u32 v0, s12, s10, v0
	s_wait_alu 0xf1ff
	v_add_co_ci_u32_e64 v1, null, s11, 0, s12
	s_clause 0x1
	global_load_b64 v[175:176], v[0:1], off offset:1696
	global_load_b128 v[112:115], v[0:1], off offset:1680
	s_wait_loadcnt_dscnt 0x200
	v_mul_f32_e32 v2, v49, v170
	v_mul_f32_e32 v17, v48, v170
	s_delay_alu instid0(VALU_DEP_2) | instskip(NEXT) | instid1(VALU_DEP_2)
	v_fma_f32 v16, v48, v169, -v2
	v_fmac_f32_e32 v17, v49, v169
	s_wait_loadcnt 0x0
	v_mul_f32_e32 v0, v51, v113
	v_mul_f32_e32 v19, v50, v113
	s_delay_alu instid0(VALU_DEP_2) | instskip(NEXT) | instid1(VALU_DEP_2)
	v_fma_f32 v18, v50, v112, -v0
	v_fmac_f32_e32 v19, v51, v112
	ds_load_2addr_b64 v[48:51], v156 offset0:96 offset1:240
	s_wait_dscnt 0x0
	v_mul_f32_e32 v0, v49, v172
	v_mul_f32_e32 v21, v48, v172
	;; [unrolled: 1-line block ×3, first 2 shown]
	s_delay_alu instid0(VALU_DEP_3) | instskip(SKIP_1) | instid1(VALU_DEP_4)
	v_fma_f32 v20, v48, v171, -v0
	v_mul_f32_e32 v0, v51, v115
	v_fmac_f32_e32 v21, v49, v171
	s_delay_alu instid0(VALU_DEP_4) | instskip(NEXT) | instid1(VALU_DEP_3)
	v_fmac_f32_e32 v23, v51, v114
	v_fma_f32 v22, v50, v114, -v0
	ds_load_2addr_b64 v[48:51], v255 offset0:64 offset1:208
	s_wait_dscnt 0x0
	v_mul_f32_e32 v0, v49, v174
	v_mul_f32_e32 v25, v48, v174
	;; [unrolled: 1-line block ×3, first 2 shown]
	s_delay_alu instid0(VALU_DEP_3) | instskip(NEXT) | instid1(VALU_DEP_3)
	v_fma_f32 v24, v48, v173, -v0
	v_dual_mul_f32 v0, v51, v176 :: v_dual_fmac_f32 v25, v49, v173
	s_delay_alu instid0(VALU_DEP_3) | instskip(NEXT) | instid1(VALU_DEP_2)
	v_fmac_f32_e32 v27, v51, v175
	v_fma_f32 v26, v50, v175, -v0
	v_add_nc_u16 v0, v90, 0x240
	s_delay_alu instid0(VALU_DEP_1) | instskip(NEXT) | instid1(VALU_DEP_1)
	v_lshrrev_b16 v1, 3, v0
	v_and_b32_e32 v1, 0xffff, v1
	s_delay_alu instid0(VALU_DEP_1) | instskip(NEXT) | instid1(VALU_DEP_1)
	v_mul_u32_u24_e32 v1, 0x12f7, v1
	v_lshrrev_b32_e32 v28, 17, v1
	s_delay_alu instid0(VALU_DEP_1) | instskip(NEXT) | instid1(VALU_DEP_1)
	v_mul_lo_u16 v1, 0xd8, v28
	v_sub_nc_u16 v29, v0, v1
	v_add_nc_u16 v0, v90, 0x2d0
	s_delay_alu instid0(VALU_DEP_1) | instskip(NEXT) | instid1(VALU_DEP_1)
	v_lshrrev_b16 v1, 3, v0
	v_and_b32_e32 v1, 0xffff, v1
	s_delay_alu instid0(VALU_DEP_1) | instskip(NEXT) | instid1(VALU_DEP_1)
	v_mul_u32_u24_e32 v1, 0x12f7, v1
	v_lshrrev_b32_e32 v1, 17, v1
	s_delay_alu instid0(VALU_DEP_1) | instskip(NEXT) | instid1(VALU_DEP_1)
	v_mul_lo_u16 v1, 0xd8, v1
	v_sub_nc_u16 v94, v0, v1
	v_mul_lo_u16 v0, v29, 24
	s_delay_alu instid0(VALU_DEP_2) | instskip(NEXT) | instid1(VALU_DEP_2)
	v_mul_lo_u16 v1, v94, 24
	v_and_b32_e32 v0, 0xffff, v0
	s_delay_alu instid0(VALU_DEP_2) | instskip(NEXT) | instid1(VALU_DEP_2)
	v_and_b32_e32 v2, 0xffff, v1
	v_add_co_u32 v0, s12, s10, v0
	s_wait_alu 0xf1ff
	v_add_co_ci_u32_e64 v1, null, s11, 0, s12
	s_delay_alu instid0(VALU_DEP_3)
	v_add_co_u32 v2, s12, s10, v2
	s_wait_alu 0xf1ff
	v_add_co_ci_u32_e64 v3, null, s11, 0, s12
	s_clause 0x1
	global_load_b64 v[179:180], v[0:1], off offset:1696
	global_load_b128 v[52:55], v[0:1], off offset:1680
	ds_load_2addr_b64 v[95:98], v159 offset0:32 offset1:176
	s_clause 0x1
	global_load_b64 v[181:182], v[2:3], off offset:1696
	global_load_b128 v[48:51], v[2:3], off offset:1680
	v_sub_f32_e32 v1, v4, v12
	s_delay_alu instid0(VALU_DEP_1)
	v_fma_f32 v2, v4, 2.0, -v1
	s_wait_loadcnt_dscnt 0x200
	v_mul_f32_e32 v0, v96, v53
	v_mul_f32_e32 v31, v95, v53
	s_wait_loadcnt 0x0
	v_mul_f32_e32 v33, v97, v49
	s_delay_alu instid0(VALU_DEP_3) | instskip(NEXT) | instid1(VALU_DEP_3)
	v_fma_f32 v30, v95, v52, -v0
	v_dual_mul_f32 v0, v98, v49 :: v_dual_fmac_f32 v31, v96, v52
	s_delay_alu instid0(VALU_DEP_3) | instskip(NEXT) | instid1(VALU_DEP_2)
	v_fmac_f32_e32 v33, v98, v48
	v_fma_f32 v32, v97, v48, -v0
	ds_load_2addr_b64 v[95:98], v212 offset1:144
	s_wait_dscnt 0x0
	v_mul_f32_e32 v0, v96, v55
	v_mul_f32_e32 v35, v95, v55
	;; [unrolled: 1-line block ×3, first 2 shown]
	s_delay_alu instid0(VALU_DEP_3) | instskip(NEXT) | instid1(VALU_DEP_3)
	v_fma_f32 v34, v95, v54, -v0
	v_dual_mul_f32 v0, v98, v51 :: v_dual_fmac_f32 v35, v96, v54
	s_delay_alu instid0(VALU_DEP_3) | instskip(NEXT) | instid1(VALU_DEP_2)
	v_fmac_f32_e32 v37, v98, v50
	v_fma_f32 v36, v97, v50, -v0
	ds_load_2addr_b64 v[95:98], v241 offset0:96 offset1:240
	s_wait_dscnt 0x0
	v_mul_f32_e32 v0, v96, v180
	v_mul_f32_e32 v39, v95, v180
	;; [unrolled: 1-line block ×3, first 2 shown]
	s_delay_alu instid0(VALU_DEP_3) | instskip(NEXT) | instid1(VALU_DEP_3)
	v_fma_f32 v38, v95, v179, -v0
	v_dual_mul_f32 v0, v98, v182 :: v_dual_fmac_f32 v39, v96, v179
	s_delay_alu instid0(VALU_DEP_3) | instskip(NEXT) | instid1(VALU_DEP_2)
	v_fmac_f32_e32 v41, v98, v181
	v_fma_f32 v40, v97, v181, -v0
	ds_load_2addr_b64 v[95:98], v203 offset1:144
	v_sub_f32_e32 v0, v5, v13
	ds_load_2addr_b64 v[99:102], v229 offset0:32 offset1:176
	ds_load_2addr_b64 v[103:106], v162 offset0:64 offset1:208
	global_wb scope:SCOPE_SE
	s_wait_dscnt 0x0
	s_barrier_signal -1
	s_barrier_wait -1
	v_fma_f32 v3, v5, 2.0, -v0
	global_inv scope:SCOPE_SE
	v_dual_sub_f32 v6, v95, v6 :: v_dual_sub_f32 v7, v96, v7
	s_delay_alu instid0(VALU_DEP_1) | instskip(NEXT) | instid1(VALU_DEP_2)
	v_fma_f32 v12, v95, 2.0, -v6
	v_fma_f32 v13, v96, 2.0, -v7
	v_dual_sub_f32 v0, v6, v0 :: v_dual_add_f32 v1, v7, v1
	s_delay_alu instid0(VALU_DEP_2) | instskip(NEXT) | instid1(VALU_DEP_2)
	v_dual_sub_f32 v2, v12, v2 :: v_dual_sub_f32 v3, v13, v3
	v_fma_f32 v4, v6, 2.0, -v0
	s_delay_alu instid0(VALU_DEP_3) | instskip(NEXT) | instid1(VALU_DEP_3)
	v_fma_f32 v5, v7, 2.0, -v1
	v_fma_f32 v6, v12, 2.0, -v2
	s_delay_alu instid0(VALU_DEP_4)
	v_fma_f32 v7, v13, 2.0, -v3
	ds_store_2addr_b64 v203, v[6:7], v[4:5] offset1:216
	v_add_nc_u32_e32 v4, 0xd00, v203
	v_sub_f32_e32 v5, v98, v11
	ds_store_2addr_b64 v4, v[2:3], v[0:1] offset0:16 offset1:232
	v_sub_f32_e32 v4, v97, v10
	v_dual_sub_f32 v1, v8, v14 :: v_dual_sub_f32 v0, v9, v15
	v_fma_f32 v7, v98, 2.0, -v5
	s_delay_alu instid0(VALU_DEP_3) | instskip(NEXT) | instid1(VALU_DEP_3)
	v_fma_f32 v6, v97, 2.0, -v4
	v_fma_f32 v2, v8, 2.0, -v1
	s_delay_alu instid0(VALU_DEP_4) | instskip(SKIP_3) | instid1(VALU_DEP_3)
	v_fma_f32 v3, v9, 2.0, -v0
	v_dual_sub_f32 v0, v4, v0 :: v_dual_add_f32 v1, v5, v1
	s_wait_alu 0xfffd
	v_cndmask_b32_e64 v8, 0, 0x360, vcc_lo
	v_dual_sub_f32 v2, v6, v2 :: v_dual_sub_f32 v3, v7, v3
	s_delay_alu instid0(VALU_DEP_3) | instskip(SKIP_1) | instid1(VALU_DEP_4)
	v_fma_f32 v4, v4, 2.0, -v0
	v_fma_f32 v5, v5, 2.0, -v1
	v_add_lshl_u32 v8, v92, v8, 3
	s_delay_alu instid0(VALU_DEP_4)
	v_fma_f32 v6, v6, 2.0, -v2
	v_fma_f32 v7, v7, 2.0, -v3
	ds_store_2addr_b64 v8, v[6:7], v[4:5] offset1:216
	v_add_nc_u32_e32 v4, 0xd00, v8
	scratch_store_b32 off, v8, off offset:156 ; 4-byte Folded Spill
	v_dual_sub_f32 v5, v100, v21 :: v_dual_add_nc_u32 v8, 0x1d00, v203
	scratch_store_b32 off, v4, off offset:152 ; 4-byte Folded Spill
	ds_store_2addr_b64 v4, v[2:3], v[0:1] offset0:16 offset1:232
	v_dual_sub_f32 v1, v16, v24 :: v_dual_sub_f32 v0, v17, v25
	v_sub_f32_e32 v4, v99, v20
	v_fma_f32 v7, v100, 2.0, -v5
	s_delay_alu instid0(VALU_DEP_3) | instskip(NEXT) | instid1(VALU_DEP_4)
	v_fma_f32 v2, v16, 2.0, -v1
	v_fma_f32 v3, v17, 2.0, -v0
	s_delay_alu instid0(VALU_DEP_4) | instskip(SKIP_1) | instid1(VALU_DEP_2)
	v_fma_f32 v6, v99, 2.0, -v4
	v_dual_sub_f32 v0, v4, v0 :: v_dual_add_f32 v1, v5, v1
	v_dual_sub_f32 v3, v7, v3 :: v_dual_sub_f32 v2, v6, v2
	s_delay_alu instid0(VALU_DEP_2) | instskip(NEXT) | instid1(VALU_DEP_3)
	v_fma_f32 v4, v4, 2.0, -v0
	v_fma_f32 v5, v5, 2.0, -v1
	s_delay_alu instid0(VALU_DEP_3) | instskip(NEXT) | instid1(VALU_DEP_4)
	v_fma_f32 v7, v7, 2.0, -v3
	v_fma_f32 v6, v6, 2.0, -v2
	ds_store_2addr_b64 v8, v[6:7], v[4:5] offset0:8 offset1:224
	v_add_nc_u32_e32 v4, 0x2a00, v203
	v_dual_sub_f32 v5, v102, v23 :: v_dual_and_b32 v8, 0xffff, v93
	ds_store_2addr_b64 v4, v[2:3], v[0:1] offset0:24 offset1:240
	v_sub_f32_e32 v4, v101, v22
	v_dual_sub_f32 v1, v18, v26 :: v_dual_sub_f32 v0, v19, v27
	v_fma_f32 v7, v102, 2.0, -v5
	v_lshlrev_b32_e32 v8, 3, v8
	s_delay_alu instid0(VALU_DEP_4) | instskip(NEXT) | instid1(VALU_DEP_4)
	v_fma_f32 v6, v101, 2.0, -v4
	v_fma_f32 v2, v18, 2.0, -v1
	;; [unrolled: 1-line block ×3, first 2 shown]
	v_dual_sub_f32 v0, v4, v0 :: v_dual_add_f32 v1, v5, v1
	s_delay_alu instid0(VALU_DEP_3) | instskip(NEXT) | instid1(VALU_DEP_3)
	v_dual_sub_f32 v2, v6, v2 :: v_dual_add_nc_u32 v9, 0x3600, v8
	v_sub_f32_e32 v3, v7, v3
	s_delay_alu instid0(VALU_DEP_3) | instskip(NEXT) | instid1(VALU_DEP_4)
	v_fma_f32 v4, v4, 2.0, -v0
	v_fma_f32 v5, v5, 2.0, -v1
	s_delay_alu instid0(VALU_DEP_4) | instskip(NEXT) | instid1(VALU_DEP_4)
	v_fma_f32 v6, v6, 2.0, -v2
	v_fma_f32 v7, v7, 2.0, -v3
	ds_store_2addr_b64 v9, v[6:7], v[4:5] offset1:216
	v_dual_sub_f32 v5, v104, v35 :: v_dual_add_nc_u32 v4, 0x4300, v8
	v_mad_u16 v8, 0x360, v28, v29
	scratch_store_b32 off, v4, off offset:144 ; 4-byte Folded Spill
	ds_store_2addr_b64 v4, v[2:3], v[0:1] offset0:16 offset1:232
	v_dual_sub_f32 v1, v30, v38 :: v_dual_sub_f32 v0, v31, v39
	v_sub_f32_e32 v4, v103, v34
	v_fma_f32 v7, v104, 2.0, -v5
	v_and_b32_e32 v8, 0xffff, v8
	s_delay_alu instid0(VALU_DEP_4) | instskip(SKIP_3) | instid1(VALU_DEP_3)
	v_fma_f32 v2, v30, 2.0, -v1
	v_fma_f32 v3, v31, 2.0, -v0
	;; [unrolled: 1-line block ×3, first 2 shown]
	v_dual_sub_f32 v0, v4, v0 :: v_dual_add_f32 v1, v5, v1
	v_dual_sub_f32 v3, v7, v3 :: v_dual_lshlrev_b32 v8, 3, v8
	s_delay_alu instid0(VALU_DEP_3) | instskip(NEXT) | instid1(VALU_DEP_3)
	v_sub_f32_e32 v2, v6, v2
	v_fma_f32 v4, v4, 2.0, -v0
	s_delay_alu instid0(VALU_DEP_4) | instskip(NEXT) | instid1(VALU_DEP_4)
	v_fma_f32 v5, v5, 2.0, -v1
	v_fma_f32 v7, v7, 2.0, -v3
	s_delay_alu instid0(VALU_DEP_4)
	v_fma_f32 v6, v6, 2.0, -v2
	ds_store_2addr_b64 v8, v[6:7], v[4:5] offset1:216
	v_add_nc_u32_e32 v4, 0xd00, v8
	s_clause 0x1
	scratch_store_b32 off, v9, off offset:148
	scratch_store_b32 off, v8, off offset:140
	v_dual_sub_f32 v5, v106, v37 :: v_dual_and_b32 v8, 0xffff, v94
	scratch_store_b32 off, v4, off offset:136 ; 4-byte Folded Spill
	ds_store_2addr_b64 v4, v[2:3], v[0:1] offset0:16 offset1:232
	v_sub_f32_e32 v4, v105, v36
	v_dual_sub_f32 v1, v32, v40 :: v_dual_sub_f32 v0, v33, v41
	v_fma_f32 v7, v106, 2.0, -v5
	v_lshlrev_b32_e32 v8, 3, v8
	s_delay_alu instid0(VALU_DEP_4) | instskip(NEXT) | instid1(VALU_DEP_4)
	v_fma_f32 v6, v105, 2.0, -v4
	v_fma_f32 v2, v32, 2.0, -v1
	;; [unrolled: 1-line block ×3, first 2 shown]
	v_dual_sub_f32 v0, v4, v0 :: v_dual_add_f32 v1, v5, v1
	s_delay_alu instid0(VALU_DEP_3) | instskip(NEXT) | instid1(VALU_DEP_3)
	v_dual_sub_f32 v2, v6, v2 :: v_dual_add_nc_u32 v9, 0x5000, v8
	v_sub_f32_e32 v3, v7, v3
	s_delay_alu instid0(VALU_DEP_3) | instskip(NEXT) | instid1(VALU_DEP_4)
	v_fma_f32 v4, v4, 2.0, -v0
	v_fma_f32 v5, v5, 2.0, -v1
	s_delay_alu instid0(VALU_DEP_4) | instskip(NEXT) | instid1(VALU_DEP_4)
	v_fma_f32 v6, v6, 2.0, -v2
	v_fma_f32 v7, v7, 2.0, -v3
	ds_store_2addr_b64 v9, v[6:7], v[4:5] offset0:32 offset1:248
	v_add_nc_u32_e32 v4, 0x5e00, v8
	s_clause 0x1
	scratch_store_b32 off, v9, off offset:124
	scratch_store_b32 off, v4, off offset:120
	ds_store_2addr_b64 v4, v[2:3], v[0:1] offset0:16 offset1:232
	global_wb scope:SCOPE_SE
	s_wait_storecnt_dscnt 0x0
	s_barrier_signal -1
	s_barrier_wait -1
	global_inv scope:SCOPE_SE
	s_clause 0x1
	global_load_b64 v[185:186], v[88:89], off offset:6880
	global_load_b128 v[92:95], v[88:89], off offset:6864
	ds_load_2addr_b64 v[96:99], v216 offset0:96 offset1:240
	s_wait_loadcnt_dscnt 0x0
	v_mul_f32_e32 v0, v97, v93
	v_mul_f32_e32 v3, v96, v93
	s_delay_alu instid0(VALU_DEP_2)
	v_fma_f32 v2, v96, v92, -v0
	v_mad_co_u64_u32 v[0:1], null, v91, 24, s[10:11]
	s_clause 0x1
	global_load_b64 v[187:188], v[0:1], off offset:6880
	global_load_b128 v[88:91], v[0:1], off offset:6864
	v_fmac_f32_e32 v3, v97, v92
	s_add_nc_u64 s[10:11], s[8:9], 0x6c00
	s_wait_loadcnt 0x0
	v_mul_f32_e32 v4, v99, v89
	v_mul_f32_e32 v7, v98, v89
	s_delay_alu instid0(VALU_DEP_2) | instskip(NEXT) | instid1(VALU_DEP_2)
	v_fma_f32 v6, v98, v88, -v4
	v_fmac_f32_e32 v7, v99, v88
	ds_load_2addr_b64 v[96:99], v213 offset0:64 offset1:208
	s_wait_dscnt 0x0
	v_mul_f32_e32 v4, v97, v95
	v_mul_f32_e32 v5, v96, v95
	;; [unrolled: 1-line block ×4, first 2 shown]
	s_delay_alu instid0(VALU_DEP_4) | instskip(NEXT) | instid1(VALU_DEP_4)
	v_fma_f32 v4, v96, v94, -v4
	v_fmac_f32_e32 v5, v97, v94
	s_delay_alu instid0(VALU_DEP_4) | instskip(NEXT) | instid1(VALU_DEP_4)
	v_fma_f32 v8, v98, v90, -v8
	v_fmac_f32_e32 v9, v99, v90
	ds_load_2addr_b64 v[96:99], v209 offset0:32 offset1:176
	s_clause 0x1
	global_load_b64 v[191:192], v[0:1], off offset:10336
	global_load_b128 v[104:107], v[0:1], off offset:10320
	s_wait_dscnt 0x0
	v_mul_f32_e32 v12, v99, v188
	v_dual_mul_f32 v13, v98, v188 :: v_dual_mul_f32 v10, v97, v186
	v_mul_f32_e32 v11, v96, v186
	s_delay_alu instid0(VALU_DEP_3) | instskip(NEXT) | instid1(VALU_DEP_3)
	v_fma_f32 v12, v98, v187, -v12
	v_fmac_f32_e32 v13, v99, v187
	ds_load_2addr_b64 v[98:101], v219 offset1:144
	v_fma_f32 v10, v96, v185, -v10
	v_fmac_f32_e32 v11, v97, v185
	s_wait_loadcnt_dscnt 0x0
	v_mul_f32_e32 v14, v99, v105
	v_mul_f32_e32 v15, v98, v105
	s_delay_alu instid0(VALU_DEP_2) | instskip(NEXT) | instid1(VALU_DEP_2)
	v_fma_f32 v14, v98, v104, -v14
	v_fmac_f32_e32 v15, v99, v104
	s_clause 0x1
	global_load_b64 v[195:196], v[0:1], off offset:13792
	global_load_b128 v[96:99], v[0:1], off offset:13776
	s_wait_loadcnt 0x0
	v_mul_f32_e32 v16, v101, v97
	v_mul_f32_e32 v17, v100, v97
	s_delay_alu instid0(VALU_DEP_2) | instskip(NEXT) | instid1(VALU_DEP_2)
	v_fma_f32 v16, v100, v96, -v16
	v_fmac_f32_e32 v17, v101, v96
	ds_load_2addr_b64 v[100:103], v156 offset0:96 offset1:240
	s_wait_dscnt 0x0
	v_mul_f32_e32 v18, v101, v107
	v_mul_f32_e32 v19, v100, v107
	;; [unrolled: 1-line block ×4, first 2 shown]
	s_delay_alu instid0(VALU_DEP_4) | instskip(NEXT) | instid1(VALU_DEP_4)
	v_fma_f32 v18, v100, v106, -v18
	v_fmac_f32_e32 v19, v101, v106
	s_delay_alu instid0(VALU_DEP_4) | instskip(NEXT) | instid1(VALU_DEP_4)
	v_fma_f32 v20, v102, v98, -v20
	v_fmac_f32_e32 v21, v103, v98
	ds_load_2addr_b64 v[100:103], v255 offset0:64 offset1:208
	s_clause 0x1
	global_load_b64 v[197:198], v[0:1], off offset:17248
	global_load_b128 v[108:111], v[0:1], off offset:17232
	ds_load_2addr_b64 v[244:247], v159 offset0:32 offset1:176
	s_wait_dscnt 0x1
	v_mul_f32_e32 v22, v101, v192
	v_mul_f32_e32 v23, v100, v192
	;; [unrolled: 1-line block ×4, first 2 shown]
	s_delay_alu instid0(VALU_DEP_4) | instskip(NEXT) | instid1(VALU_DEP_4)
	v_fma_f32 v22, v100, v191, -v22
	v_fmac_f32_e32 v23, v101, v191
	s_delay_alu instid0(VALU_DEP_4) | instskip(NEXT) | instid1(VALU_DEP_4)
	v_fma_f32 v24, v102, v195, -v24
	v_fmac_f32_e32 v25, v103, v195
	s_clause 0x1
	global_load_b64 v[199:200], v[0:1], off offset:20704
	global_load_b128 v[100:103], v[0:1], off offset:20688
	s_wait_loadcnt_dscnt 0x200
	v_mul_f32_e32 v26, v245, v109
	v_mul_f32_e32 v27, v244, v109
	s_delay_alu instid0(VALU_DEP_2) | instskip(SKIP_1) | instid1(VALU_DEP_2)
	v_fma_f32 v26, v244, v108, -v26
	s_wait_loadcnt 0x0
	v_dual_fmac_f32 v27, v245, v108 :: v_dual_mul_f32 v0, v247, v101
	v_mul_f32_e32 v29, v246, v101
	s_delay_alu instid0(VALU_DEP_2) | instskip(NEXT) | instid1(VALU_DEP_2)
	v_fma_f32 v28, v246, v100, -v0
	v_fmac_f32_e32 v29, v247, v100
	ds_load_2addr_b64 v[244:247], v212 offset1:144
	s_wait_dscnt 0x0
	v_mul_f32_e32 v0, v245, v111
	v_mul_f32_e32 v31, v244, v111
	;; [unrolled: 1-line block ×3, first 2 shown]
	s_delay_alu instid0(VALU_DEP_3) | instskip(NEXT) | instid1(VALU_DEP_3)
	v_fma_f32 v30, v244, v110, -v0
	v_dual_mul_f32 v0, v247, v103 :: v_dual_fmac_f32 v31, v245, v110
	s_delay_alu instid0(VALU_DEP_3) | instskip(NEXT) | instid1(VALU_DEP_2)
	v_fmac_f32_e32 v33, v247, v102
	v_fma_f32 v32, v246, v102, -v0
	ds_load_2addr_b64 v[244:247], v241 offset0:96 offset1:240
	s_wait_dscnt 0x0
	v_mul_f32_e32 v0, v245, v198
	v_mul_f32_e32 v35, v244, v198
	;; [unrolled: 1-line block ×3, first 2 shown]
	s_delay_alu instid0(VALU_DEP_3) | instskip(NEXT) | instid1(VALU_DEP_3)
	v_fma_f32 v34, v244, v197, -v0
	v_dual_mul_f32 v0, v247, v200 :: v_dual_fmac_f32 v35, v245, v197
	s_delay_alu instid0(VALU_DEP_3) | instskip(NEXT) | instid1(VALU_DEP_2)
	v_fmac_f32_e32 v37, v247, v199
	v_fma_f32 v36, v246, v199, -v0
	ds_load_2addr_b64 v[244:247], v203 offset1:144
	v_sub_f32_e32 v0, v2, v10
	v_sub_f32_e32 v10, v3, v11
	s_delay_alu instid0(VALU_DEP_2) | instskip(SKIP_3) | instid1(VALU_DEP_2)
	v_fma_f32 v11, v2, 2.0, -v0
	s_wait_dscnt 0x0
	v_dual_sub_f32 v4, v244, v4 :: v_dual_sub_f32 v5, v245, v5
	v_dual_sub_f32 v8, v246, v8 :: v_dual_sub_f32 v9, v247, v9
	v_fma_f32 v38, v244, 2.0, -v4
	s_delay_alu instid0(VALU_DEP_3) | instskip(SKIP_4) | instid1(VALU_DEP_4)
	v_fma_f32 v39, v245, 2.0, -v5
	v_dual_add_f32 v1, v5, v0 :: v_dual_sub_f32 v0, v4, v10
	v_fma_f32 v10, v3, 2.0, -v10
	v_fma_f32 v40, v246, 2.0, -v8
	;; [unrolled: 1-line block ×5, first 2 shown]
	v_dual_sub_f32 v4, v38, v11 :: v_dual_sub_f32 v5, v39, v10
	v_dual_sub_f32 v10, v6, v12 :: v_dual_sub_f32 v11, v7, v13
	ds_load_2addr_b64 v[244:247], v229 offset0:32 offset1:176
	ds_load_2addr_b64 v[248:251], v162 offset0:64 offset1:208
	ds_store_b64 v203, v[2:3] offset:6912
	ds_store_b64 v203, v[0:1] offset:20736
	v_fma_f32 v0, v38, 2.0, -v4
	v_fma_f32 v2, v6, 2.0, -v10
	;; [unrolled: 1-line block ×4, first 2 shown]
	ds_store_b64 v203, v[4:5] offset:13824
	v_dual_sub_f32 v2, v40, v2 :: v_dual_sub_f32 v3, v41, v3
	s_delay_alu instid0(VALU_DEP_1) | instskip(NEXT) | instid1(VALU_DEP_2)
	v_fma_f32 v4, v40, 2.0, -v2
	v_fma_f32 v5, v41, 2.0, -v3
	ds_store_2addr_b64 v203, v[0:1], v[4:5] offset1:144
	v_dual_sub_f32 v0, v8, v11 :: v_dual_add_f32 v1, v9, v10
	ds_store_b64 v203, v[2:3] offset:14976
	s_wait_dscnt 0x6
	v_dual_sub_f32 v6, v244, v18 :: v_dual_sub_f32 v7, v245, v19
	v_fma_f32 v2, v8, 2.0, -v0
	v_fma_f32 v3, v9, 2.0, -v1
	v_dual_sub_f32 v8, v15, v23 :: v_dual_sub_f32 v9, v14, v22
	ds_store_b64 v203, v[0:1] offset:21888
	v_dual_sub_f32 v10, v246, v20 :: v_dual_sub_f32 v11, v247, v21
	v_dual_sub_f32 v0, v6, v8 :: v_dual_add_f32 v1, v7, v9
	s_delay_alu instid0(VALU_DEP_2) | instskip(NEXT) | instid1(VALU_DEP_3)
	v_fma_f32 v12, v246, 2.0, -v10
	v_fma_f32 v13, v247, 2.0, -v11
	s_delay_alu instid0(VALU_DEP_3) | instskip(NEXT) | instid1(VALU_DEP_4)
	v_fma_f32 v4, v6, 2.0, -v0
	v_fma_f32 v5, v7, 2.0, -v1
	;; [unrolled: 1-line block ×4, first 2 shown]
	ds_store_2addr_b64 v45, v[2:3], v[4:5] offset0:48 offset1:192
	v_fma_f32 v2, v14, 2.0, -v9
	v_fma_f32 v3, v15, 2.0, -v8
	v_dual_sub_f32 v14, v16, v24 :: v_dual_sub_f32 v15, v17, v25
	s_delay_alu instid0(VALU_DEP_2) | instskip(NEXT) | instid1(VALU_DEP_2)
	v_dual_sub_f32 v2, v6, v2 :: v_dual_sub_f32 v3, v7, v3
	v_fma_f32 v4, v16, 2.0, -v14
	s_delay_alu instid0(VALU_DEP_3) | instskip(NEXT) | instid1(VALU_DEP_3)
	v_fma_f32 v5, v17, 2.0, -v15
	v_fma_f32 v6, v6, 2.0, -v2
	s_delay_alu instid0(VALU_DEP_4) | instskip(NEXT) | instid1(VALU_DEP_3)
	v_fma_f32 v7, v7, 2.0, -v3
	v_dual_sub_f32 v4, v12, v4 :: v_dual_sub_f32 v5, v13, v5
	s_delay_alu instid0(VALU_DEP_1) | instskip(NEXT) | instid1(VALU_DEP_2)
	v_fma_f32 v8, v12, 2.0, -v4
	v_fma_f32 v9, v13, 2.0, -v5
	ds_store_2addr_b64 v229, v[6:7], v[8:9] offset0:32 offset1:176
	ds_store_2addr_b64 v156, v[2:3], v[4:5] offset0:96 offset1:240
	v_dual_sub_f32 v2, v10, v15 :: v_dual_add_f32 v3, v11, v14
	s_wait_dscnt 0x9
	v_dual_sub_f32 v6, v248, v30 :: v_dual_sub_f32 v7, v249, v31
	v_dual_sub_f32 v8, v27, v35 :: v_dual_sub_f32 v9, v26, v34
	ds_store_2addr_b64 v255, v[0:1], v[2:3] offset0:64 offset1:208
	v_fma_f32 v0, v10, 2.0, -v2
	v_fma_f32 v1, v11, 2.0, -v3
	v_dual_sub_f32 v2, v6, v8 :: v_dual_add_f32 v3, v7, v9
	v_dual_sub_f32 v10, v250, v32 :: v_dual_sub_f32 v11, v251, v33
	v_sub_f32_e32 v14, v28, v36
	s_delay_alu instid0(VALU_DEP_3) | instskip(NEXT) | instid1(VALU_DEP_4)
	v_fma_f32 v4, v6, 2.0, -v2
	v_fma_f32 v5, v7, 2.0, -v3
	v_sub_f32_e32 v15, v29, v37
	v_fma_f32 v6, v248, 2.0, -v6
	v_fma_f32 v7, v249, 2.0, -v7
	;; [unrolled: 1-line block ×3, first 2 shown]
	ds_store_2addr_b64 v208, v[0:1], v[4:5] offset0:16 offset1:160
	v_fma_f32 v13, v251, 2.0, -v11
	v_fma_f32 v0, v26, 2.0, -v9
	;; [unrolled: 1-line block ×5, first 2 shown]
	s_delay_alu instid0(VALU_DEP_3) | instskip(NEXT) | instid1(VALU_DEP_2)
	v_dual_sub_f32 v0, v6, v0 :: v_dual_sub_f32 v1, v7, v1
	v_dual_sub_f32 v4, v12, v4 :: v_dual_sub_f32 v5, v13, v5
	s_delay_alu instid0(VALU_DEP_2) | instskip(NEXT) | instid1(VALU_DEP_3)
	v_fma_f32 v6, v6, 2.0, -v0
	v_fma_f32 v7, v7, 2.0, -v1
	s_delay_alu instid0(VALU_DEP_3) | instskip(NEXT) | instid1(VALU_DEP_4)
	v_fma_f32 v8, v12, 2.0, -v4
	v_fma_f32 v9, v13, 2.0, -v5
	ds_store_2addr_b64 v162, v[6:7], v[8:9] offset0:64 offset1:208
	ds_store_2addr_b64 v212, v[0:1], v[4:5] offset1:144
	v_dual_sub_f32 v0, v10, v15 :: v_dual_add_f32 v1, v11, v14
	ds_store_2addr_b64 v241, v[2:3], v[0:1] offset0:96 offset1:240
	v_fma_f32 v0, v10, 2.0, -v0
	v_fma_f32 v1, v11, 2.0, -v1
	ds_store_b64 v203, v[0:1] offset:12672
	global_wb scope:SCOPE_SE
	s_wait_dscnt 0x0
	s_barrier_signal -1
	s_barrier_wait -1
	global_inv scope:SCOPE_SE
	s_clause 0x1
	global_load_b64 v[0:1], v203, s[8:9] offset:27648
	global_load_b64 v[2:3], v203, s[10:11] offset:26496
	ds_load_2addr_b64 v[244:247], v203 offset1:144
	s_wait_loadcnt_dscnt 0x100
	v_mul_f32_e32 v4, v245, v1
	v_mul_f32_e32 v5, v244, v1
	s_delay_alu instid0(VALU_DEP_2) | instskip(NEXT) | instid1(VALU_DEP_2)
	v_fma_f32 v4, v244, v0, -v4
	v_fmac_f32_e32 v5, v245, v0
	s_clause 0x2
	global_load_b64 v[0:1], v203, s[10:11] offset:1152
	global_load_b64 v[6:7], v203, s[10:11] offset:2304
	;; [unrolled: 1-line block ×3, first 2 shown]
	ds_store_b64 v203, v[4:5]
	s_wait_loadcnt 0x2
	v_mul_f32_e32 v10, v247, v1
	v_mul_f32_e32 v11, v246, v1
	s_delay_alu instid0(VALU_DEP_2) | instskip(NEXT) | instid1(VALU_DEP_2)
	v_fma_f32 v10, v246, v0, -v10
	v_fmac_f32_e32 v11, v247, v0
	global_load_b64 v[0:1], v203, s[10:11] offset:4608
	ds_load_2addr_b64 v[244:247], v162 offset0:64 offset1:208
	s_wait_loadcnt_dscnt 0x0
	v_mul_f32_e32 v4, v245, v1
	v_mul_f32_e32 v5, v244, v1
	s_delay_alu instid0(VALU_DEP_2) | instskip(NEXT) | instid1(VALU_DEP_2)
	v_fma_f32 v4, v244, v0, -v4
	v_fmac_f32_e32 v5, v245, v0
	s_clause 0x2
	global_load_b64 v[0:1], v203, s[10:11] offset:5760
	global_load_b64 v[12:13], v203, s[10:11] offset:6912
	;; [unrolled: 1-line block ×3, first 2 shown]
	s_wait_loadcnt 0x2
	v_mul_f32_e32 v16, v247, v1
	v_mul_f32_e32 v17, v246, v1
	s_delay_alu instid0(VALU_DEP_2) | instskip(NEXT) | instid1(VALU_DEP_2)
	v_fma_f32 v16, v246, v0, -v16
	v_fmac_f32_e32 v17, v247, v0
	global_load_b64 v[0:1], v203, s[10:11] offset:9216
	ds_load_2addr_b64 v[244:247], v219 offset1:144
	s_wait_loadcnt_dscnt 0x0
	v_mul_f32_e32 v18, v245, v1
	v_mul_f32_e32 v19, v244, v1
	s_delay_alu instid0(VALU_DEP_2) | instskip(NEXT) | instid1(VALU_DEP_2)
	v_fma_f32 v18, v244, v0, -v18
	v_fmac_f32_e32 v19, v245, v0
	s_clause 0x2
	global_load_b64 v[0:1], v203, s[10:11] offset:10368
	global_load_b64 v[20:21], v203, s[10:11] offset:11520
	;; [unrolled: 1-line block ×3, first 2 shown]
	s_wait_loadcnt 0x2
	v_mul_f32_e32 v24, v247, v1
	v_mul_f32_e32 v25, v246, v1
	s_delay_alu instid0(VALU_DEP_2) | instskip(NEXT) | instid1(VALU_DEP_2)
	v_fma_f32 v24, v246, v0, -v24
	v_fmac_f32_e32 v25, v247, v0
	global_load_b64 v[0:1], v203, s[10:11] offset:13824
	ds_load_2addr_b64 v[244:247], v213 offset0:64 offset1:208
	s_wait_loadcnt_dscnt 0x0
	v_dual_mov_b32 v213, v255 :: v_dual_mul_f32 v26, v245, v1
	v_mul_f32_e32 v27, v244, v1
	s_delay_alu instid0(VALU_DEP_2) | instskip(NEXT) | instid1(VALU_DEP_2)
	v_fma_f32 v26, v244, v0, -v26
	v_fmac_f32_e32 v27, v245, v0
	s_clause 0x2
	global_load_b64 v[0:1], v203, s[10:11] offset:14976
	global_load_b64 v[28:29], v203, s[10:11] offset:16128
	;; [unrolled: 1-line block ×3, first 2 shown]
	s_wait_loadcnt 0x2
	v_mul_f32_e32 v32, v247, v1
	v_mul_f32_e32 v33, v246, v1
	s_delay_alu instid0(VALU_DEP_2) | instskip(NEXT) | instid1(VALU_DEP_2)
	v_fma_f32 v32, v246, v0, -v32
	v_fmac_f32_e32 v33, v247, v0
	global_load_b64 v[0:1], v203, s[10:11] offset:18432
	ds_load_2addr_b64 v[244:247], v212 offset1:144
	s_wait_loadcnt_dscnt 0x0
	v_mul_f32_e32 v34, v245, v1
	v_mul_f32_e32 v35, v244, v1
	s_delay_alu instid0(VALU_DEP_2) | instskip(NEXT) | instid1(VALU_DEP_2)
	v_fma_f32 v34, v244, v0, -v34
	v_fmac_f32_e32 v35, v245, v0
	s_clause 0x2
	global_load_b64 v[0:1], v203, s[10:11] offset:19584
	global_load_b64 v[36:37], v203, s[10:11] offset:20736
	;; [unrolled: 1-line block ×3, first 2 shown]
	s_wait_loadcnt 0x2
	v_mul_f32_e32 v40, v247, v1
	v_mul_f32_e32 v41, v246, v1
	s_delay_alu instid0(VALU_DEP_2) | instskip(NEXT) | instid1(VALU_DEP_2)
	v_fma_f32 v40, v246, v0, -v40
	v_fmac_f32_e32 v41, v247, v0
	global_load_b64 v[0:1], v203, s[10:11] offset:23040
	ds_load_2addr_b64 v[244:247], v255 offset0:64 offset1:208
	s_wait_loadcnt_dscnt 0x0
	v_mul_f32_e32 v42, v245, v1
	v_mul_f32_e32 v43, v244, v1
	s_delay_alu instid0(VALU_DEP_2) | instskip(NEXT) | instid1(VALU_DEP_2)
	v_fma_f32 v42, v244, v0, -v42
	v_fmac_f32_e32 v43, v245, v0
	s_clause 0x1
	global_load_b64 v[0:1], v203, s[10:11] offset:24192
	global_load_b64 v[248:249], v203, s[10:11] offset:25344
	s_wait_loadcnt 0x1
	v_mul_f32_e32 v244, v247, v1
	v_mul_f32_e32 v251, v246, v1
	s_delay_alu instid0(VALU_DEP_2) | instskip(NEXT) | instid1(VALU_DEP_2)
	v_fma_f32 v250, v246, v0, -v244
	v_fmac_f32_e32 v251, v247, v0
	ds_load_2addr_b64 v[244:247], v229 offset0:32 offset1:176
	s_wait_dscnt 0x0
	v_mul_f32_e32 v0, v245, v7
	v_mul_f32_e32 v1, v244, v7
	v_mul_f32_e32 v7, v246, v9
	s_delay_alu instid0(VALU_DEP_3) | instskip(NEXT) | instid1(VALU_DEP_3)
	v_fma_f32 v0, v244, v6, -v0
	v_dual_fmac_f32 v1, v245, v6 :: v_dual_mul_f32 v6, v247, v9
	s_delay_alu instid0(VALU_DEP_3) | instskip(NEXT) | instid1(VALU_DEP_2)
	v_fmac_f32_e32 v7, v247, v8
	v_fma_f32 v6, v246, v8, -v6
	ds_load_2addr_b64 v[244:247], v216 offset0:96 offset1:240
	s_wait_dscnt 0x0
	v_mul_f32_e32 v8, v245, v13
	v_mul_f32_e32 v9, v244, v13
	v_mul_f32_e32 v13, v246, v15
	s_delay_alu instid0(VALU_DEP_3) | instskip(NEXT) | instid1(VALU_DEP_3)
	v_fma_f32 v8, v244, v12, -v8
	v_dual_fmac_f32 v9, v245, v12 :: v_dual_mul_f32 v12, v247, v15
	s_delay_alu instid0(VALU_DEP_3) | instskip(NEXT) | instid1(VALU_DEP_2)
	v_fmac_f32_e32 v13, v247, v14
	v_fma_f32 v12, v246, v14, -v12
	ds_load_2addr_b64 v[244:247], v159 offset0:32 offset1:176
	s_wait_dscnt 0x0
	v_mul_f32_e32 v14, v245, v21
	v_mul_f32_e32 v15, v244, v21
	v_mul_f32_e32 v21, v246, v23
	s_delay_alu instid0(VALU_DEP_3) | instskip(NEXT) | instid1(VALU_DEP_3)
	v_fma_f32 v14, v244, v20, -v14
	v_dual_fmac_f32 v15, v245, v20 :: v_dual_mul_f32 v20, v247, v23
	s_delay_alu instid0(VALU_DEP_3) | instskip(NEXT) | instid1(VALU_DEP_2)
	v_fmac_f32_e32 v21, v247, v22
	v_fma_f32 v20, v246, v22, -v20
	ds_load_2addr_b64 v[244:247], v156 offset0:96 offset1:240
	s_wait_dscnt 0x0
	v_mul_f32_e32 v22, v245, v29
	v_mul_f32_e32 v23, v244, v29
	v_mul_f32_e32 v29, v246, v31
	s_delay_alu instid0(VALU_DEP_3) | instskip(NEXT) | instid1(VALU_DEP_3)
	v_fma_f32 v22, v244, v28, -v22
	v_dual_fmac_f32 v23, v245, v28 :: v_dual_mul_f32 v28, v247, v31
	s_delay_alu instid0(VALU_DEP_3) | instskip(NEXT) | instid1(VALU_DEP_2)
	v_fmac_f32_e32 v29, v247, v30
	v_fma_f32 v28, v246, v30, -v28
	ds_load_2addr_b64 v[244:247], v209 offset0:32 offset1:176
	s_wait_dscnt 0x0
	v_mul_f32_e32 v30, v245, v37
	v_mul_f32_e32 v31, v244, v37
	v_mul_f32_e32 v37, v246, v39
	s_delay_alu instid0(VALU_DEP_3) | instskip(NEXT) | instid1(VALU_DEP_3)
	v_fma_f32 v30, v244, v36, -v30
	v_dual_fmac_f32 v31, v245, v36 :: v_dual_mul_f32 v36, v247, v39
	s_delay_alu instid0(VALU_DEP_3) | instskip(NEXT) | instid1(VALU_DEP_2)
	v_fmac_f32_e32 v37, v247, v38
	v_fma_f32 v36, v246, v38, -v36
	ds_load_2addr_b64 v[244:247], v241 offset0:96 offset1:240
	s_wait_loadcnt_dscnt 0x0
	v_mul_f32_e32 v38, v245, v249
	v_mul_f32_e32 v39, v244, v249
	s_delay_alu instid0(VALU_DEP_2) | instskip(NEXT) | instid1(VALU_DEP_2)
	v_fma_f32 v38, v244, v248, -v38
	v_dual_fmac_f32 v39, v245, v248 :: v_dual_mul_f32 v244, v247, v3
	v_mul_f32_e32 v245, v246, v3
	s_delay_alu instid0(VALU_DEP_2) | instskip(NEXT) | instid1(VALU_DEP_2)
	v_fma_f32 v244, v246, v2, -v244
	v_dual_fmac_f32 v245, v247, v2 :: v_dual_add_nc_u32 v2, 0x400, v203
	ds_store_2addr_b64 v2, v[10:11], v[0:1] offset0:16 offset1:160
	v_add_nc_u32_e32 v0, 0x1400, v203
	ds_store_2addr_b64 v0, v[16:17], v[8:9] offset0:80 offset1:224
	ds_store_2addr_b64 v252, v[32:33], v[22:23] offset0:80 offset1:224
	;; [unrolled: 1-line block ×4, first 2 shown]
	v_add_nc_u32_e32 v0, 0xc00, v203
	ds_store_2addr_b64 v0, v[6:7], v[4:5] offset0:48 offset1:192
	v_add_nc_u32_e32 v0, 0x3000, v203
	ds_store_2addr_b64 v0, v[20:21], v[26:27] offset0:48 offset1:192
	;; [unrolled: 2-line block ×4, first 2 shown]
	ds_store_2addr_b64 v208, v[24:25], v[14:15] offset0:16 offset1:160
	ds_store_2addr_b64 v45, v[12:13], v[18:19] offset0:48 offset1:192
	ds_store_b64 v203, v[244:245] offset:26496
	global_wb scope:SCOPE_SE
	s_wait_dscnt 0x0
	s_barrier_signal -1
	s_barrier_wait -1
	global_inv scope:SCOPE_SE
	ds_load_2addr_b64 v[244:247], v203 offset1:144
	ds_load_2addr_b64 v[248:251], v219 offset1:144
	ds_load_2addr_b64 v[36:39], v47 offset0:64 offset1:208
	ds_load_2addr_b64 v[24:27], v162 offset0:64 offset1:208
	ds_load_2addr_b64 v[252:255], v212 offset1:144
	ds_load_2addr_b64 v[32:35], v213 offset0:64 offset1:208
	ds_load_2addr_b64 v[28:31], v229 offset0:32 offset1:176
	s_wait_dscnt 0x5
	v_add_f32_e32 v1, v245, v249
	s_wait_dscnt 0x3
	v_dual_add_f32 v3, v25, v37 :: v_dual_add_f32 v2, v24, v36
	s_wait_dscnt 0x1
	v_sub_f32_e32 v5, v37, v33
	v_add_f32_e32 v1, v1, v253
	s_delay_alu instid0(VALU_DEP_3) | instskip(SKIP_1) | instid1(VALU_DEP_2)
	v_dual_add_f32 v3, v3, v33 :: v_dual_add_f32 v0, v244, v248
	v_mov_b32_e32 v46, v219
	v_dual_add_f32 v2, v2, v32 :: v_dual_add_f32 v41, v1, v3
	s_delay_alu instid0(VALU_DEP_3) | instskip(SKIP_1) | instid1(VALU_DEP_2)
	v_dual_sub_f32 v3, v1, v3 :: v_dual_add_f32 v0, v0, v252
	v_sub_f32_e32 v1, v36, v32
	v_add_f32_e32 v40, v0, v2
	v_sub_f32_e32 v2, v0, v2
	v_dual_add_f32 v0, v37, v33 :: v_dual_add_f32 v37, v39, v35
	s_delay_alu instid0(VALU_DEP_1) | instskip(NEXT) | instid1(VALU_DEP_1)
	v_fma_f32 v0, -0.5, v0, v25
	v_fmamk_f32 v4, v1, 0x3f5db3d7, v0
	v_dual_fmac_f32 v0, 0xbf5db3d7, v1 :: v_dual_add_f32 v1, v248, v252
	s_delay_alu instid0(VALU_DEP_1) | instskip(NEXT) | instid1(VALU_DEP_2)
	v_mul_f32_e32 v33, 0xbf5db3d7, v0
	v_fma_f32 v25, -0.5, v1, v244
	v_sub_f32_e32 v1, v249, v253
	v_dual_mov_b32 v208, v45 :: v_dual_mov_b32 v45, v47
	s_delay_alu instid0(VALU_DEP_2) | instskip(SKIP_3) | instid1(VALU_DEP_2)
	v_fmamk_f32 v219, v1, 0xbf5db3d7, v25
	v_fmac_f32_e32 v25, 0x3f5db3d7, v1
	v_add_f32_e32 v1, v249, v253
	v_mov_b32_e32 v249, v216
	v_fma_f32 v244, -0.5, v1, v245
	v_sub_f32_e32 v1, v248, v252
	s_delay_alu instid0(VALU_DEP_1) | instskip(SKIP_1) | instid1(VALU_DEP_1)
	v_fmamk_f32 v245, v1, 0x3f5db3d7, v244
	v_dual_fmac_f32 v244, 0xbf5db3d7, v1 :: v_dual_add_f32 v1, v36, v32
	v_fma_f32 v1, -0.5, v1, v24
	s_delay_alu instid0(VALU_DEP_1) | instskip(SKIP_1) | instid1(VALU_DEP_1)
	v_fmamk_f32 v6, v5, 0xbf5db3d7, v1
	v_fmac_f32_e32 v1, 0x3f5db3d7, v5
	v_dual_fmac_f32 v33, -0.5, v1 :: v_dual_mul_f32 v32, 0.5, v4
	v_mul_f32_e32 v24, 0xbf5db3d7, v4
	s_delay_alu instid0(VALU_DEP_2) | instskip(NEXT) | instid1(VALU_DEP_1)
	v_fmac_f32_e32 v32, 0x3f5db3d7, v6
	v_add_f32_e32 v43, v245, v32
	v_mul_f32_e32 v36, -0.5, v0
	v_add_f32_e32 v0, v25, v33
	s_delay_alu instid0(VALU_DEP_2) | instskip(NEXT) | instid1(VALU_DEP_1)
	v_fmac_f32_e32 v36, 0x3f5db3d7, v1
	v_dual_add_f32 v1, v244, v36 :: v_dual_fmac_f32 v24, 0.5, v6
	ds_load_2addr_b64 v[20:23], v216 offset0:96 offset1:240
	ds_load_2addr_b64 v[4:7], v159 offset0:32 offset1:176
	;; [unrolled: 1-line block ×5, first 2 shown]
	global_wb scope:SCOPE_SE
	s_wait_dscnt 0x0
	s_barrier_signal -1
	s_barrier_wait -1
	v_add_f32_e32 v42, v219, v24
	global_inv scope:SCOPE_SE
	ds_store_b128 v220, v[40:43]
	ds_store_b128 v220, v[0:3] offset:16
	v_sub_f32_e32 v2, v25, v33
	v_sub_f32_e32 v1, v245, v32
	v_sub_f32_e32 v3, v244, v36
	v_dual_sub_f32 v0, v219, v24 :: v_dual_sub_f32 v25, v250, v254
	v_add_f32_e32 v36, v27, v39
	v_sub_f32_e32 v39, v39, v35
	v_fmac_f32_e32 v27, -0.5, v37
	ds_store_b128 v220, v[0:3] offset:32
	v_add_f32_e32 v1, v247, v251
	v_add_f32_e32 v35, v36, v35
	v_sub_f32_e32 v3, v251, v255
	s_delay_alu instid0(VALU_DEP_3) | instskip(SKIP_2) | instid1(VALU_DEP_2)
	v_dual_add_f32 v33, v1, v255 :: v_dual_add_f32 v0, v246, v250
	v_add_f32_e32 v1, v38, v34
	v_add_f32_e32 v2, v250, v254
	v_fma_f32 v37, -0.5, v1, v26
	s_delay_alu instid0(VALU_DEP_4) | instskip(SKIP_3) | instid1(VALU_DEP_2)
	v_dual_add_f32 v1, v33, v35 :: v_dual_add_f32 v32, v0, v254
	v_add_f32_e32 v0, v26, v38
	v_sub_f32_e32 v38, v38, v34
	v_add_f32_e32 v24, v251, v255
	v_fmamk_f32 v36, v38, 0x3f5db3d7, v27
	v_fmac_f32_e32 v27, 0xbf5db3d7, v38
	s_delay_alu instid0(VALU_DEP_3) | instskip(SKIP_2) | instid1(VALU_DEP_4)
	v_fmac_f32_e32 v247, -0.5, v24
	v_fmamk_f32 v24, v39, 0xbf5db3d7, v37
	v_dual_fmac_f32 v37, 0x3f5db3d7, v39 :: v_dual_add_f32 v34, v0, v34
	v_mul_f32_e32 v40, -0.5, v27
	v_mul_f32_e32 v38, 0xbf5db3d7, v27
	v_sub_f32_e32 v27, v33, v35
	s_delay_alu instid0(VALU_DEP_4) | instskip(NEXT) | instid1(VALU_DEP_4)
	v_dual_mul_f32 v35, 0xbf5db3d7, v36 :: v_dual_sub_f32 v26, v32, v34
	v_fmac_f32_e32 v40, 0x3f5db3d7, v37
	v_add_f32_e32 v0, v32, v34
	v_fmamk_f32 v34, v25, 0x3f5db3d7, v247
	v_fmac_f32_e32 v247, 0xbf5db3d7, v25
	v_fma_f32 v32, -0.5, v2, v246
	v_dual_fmac_f32 v35, 0.5, v24 :: v_dual_fmac_f32 v38, -0.5, v37
	s_delay_alu instid0(VALU_DEP_3) | instskip(NEXT) | instid1(VALU_DEP_3)
	v_add_f32_e32 v25, v247, v40
	v_dual_mul_f32 v36, 0.5, v36 :: v_dual_fmamk_f32 v33, v3, 0xbf5db3d7, v32
	v_fmac_f32_e32 v32, 0x3f5db3d7, v3
	s_delay_alu instid0(VALU_DEP_2) | instskip(NEXT) | instid1(VALU_DEP_3)
	v_fmac_f32_e32 v36, 0x3f5db3d7, v24
	v_add_f32_e32 v2, v33, v35
	s_delay_alu instid0(VALU_DEP_2)
	v_dual_add_f32 v24, v32, v38 :: v_dual_add_f32 v3, v34, v36
	ds_store_b128 v218, v[0:3]
	ds_store_b128 v218, v[24:27] offset:16
	v_dual_sub_f32 v3, v247, v40 :: v_dual_sub_f32 v0, v33, v35
	v_dual_sub_f32 v2, v32, v38 :: v_dual_sub_f32 v1, v34, v36
	ds_store_b128 v218, v[0:3] offset:32
	v_add_f32_e32 v0, v28, v4
	s_delay_alu instid0(VALU_DEP_1) | instskip(SKIP_1) | instid1(VALU_DEP_1)
	v_add_f32_e32 v2, v0, v8
	v_add_f32_e32 v0, v29, v5
	;; [unrolled: 1-line block ×4, first 2 shown]
	s_delay_alu instid0(VALU_DEP_1) | instskip(SKIP_1) | instid1(VALU_DEP_1)
	v_add_f32_e32 v24, v0, v16
	v_add_f32_e32 v0, v21, v13
	v_dual_sub_f32 v26, v2, v24 :: v_dual_add_f32 v25, v0, v17
	v_add_f32_e32 v0, v2, v24
	v_add_f32_e32 v2, v13, v17
	s_delay_alu instid0(VALU_DEP_3) | instskip(SKIP_1) | instid1(VALU_DEP_3)
	v_add_f32_e32 v1, v3, v25
	v_sub_f32_e32 v27, v3, v25
	v_fma_f32 v2, -0.5, v2, v21
	v_sub_f32_e32 v3, v12, v16
	s_delay_alu instid0(VALU_DEP_1) | instskip(SKIP_1) | instid1(VALU_DEP_1)
	v_fmamk_f32 v21, v3, 0x3f5db3d7, v2
	v_dual_fmac_f32 v2, 0xbf5db3d7, v3 :: v_dual_add_f32 v3, v4, v8
	v_fma_f32 v28, -0.5, v3, v28
	v_sub_f32_e32 v3, v5, v9
	s_delay_alu instid0(VALU_DEP_1) | instskip(SKIP_1) | instid1(VALU_DEP_1)
	v_fmamk_f32 v32, v3, 0xbf5db3d7, v28
	v_dual_fmac_f32 v28, 0x3f5db3d7, v3 :: v_dual_add_f32 v3, v5, v9
	v_fma_f32 v5, -0.5, v3, v29
	v_dual_sub_f32 v3, v4, v8 :: v_dual_sub_f32 v8, v13, v17
	s_delay_alu instid0(VALU_DEP_1) | instskip(SKIP_2) | instid1(VALU_DEP_1)
	v_dual_mul_f32 v13, -0.5, v2 :: v_dual_fmamk_f32 v4, v3, 0x3f5db3d7, v5
	v_fmac_f32_e32 v5, 0xbf5db3d7, v3
	v_dual_add_f32 v3, v12, v16 :: v_dual_mul_f32 v12, 0.5, v21
	v_fma_f32 v3, -0.5, v3, v20
	s_delay_alu instid0(VALU_DEP_1) | instskip(SKIP_2) | instid1(VALU_DEP_2)
	v_fmamk_f32 v9, v8, 0xbf5db3d7, v3
	v_fmac_f32_e32 v3, 0x3f5db3d7, v8
	v_mul_f32_e32 v8, 0xbf5db3d7, v21
	v_dual_fmac_f32 v12, 0x3f5db3d7, v9 :: v_dual_fmac_f32 v13, 0x3f5db3d7, v3
	s_delay_alu instid0(VALU_DEP_2) | instskip(NEXT) | instid1(VALU_DEP_1)
	v_dual_fmac_f32 v8, 0.5, v9 :: v_dual_mul_f32 v9, 0xbf5db3d7, v2
	v_dual_add_f32 v25, v5, v13 :: v_dual_add_f32 v2, v32, v8
	s_delay_alu instid0(VALU_DEP_2) | instskip(NEXT) | instid1(VALU_DEP_4)
	v_fmac_f32_e32 v9, -0.5, v3
	v_add_f32_e32 v3, v4, v12
	s_delay_alu instid0(VALU_DEP_2)
	v_add_f32_e32 v24, v28, v9
	ds_store_b128 v217, v[0:3]
	ds_store_b128 v217, v[24:27] offset:16
	v_sub_f32_e32 v1, v4, v12
	v_sub_f32_e32 v3, v5, v13
	v_dual_sub_f32 v5, v6, v10 :: v_dual_sub_f32 v2, v28, v9
	v_dual_add_f32 v9, v15, v19 :: v_dual_sub_f32 v0, v32, v8
	v_add_f32_e32 v8, v23, v15
	s_delay_alu instid0(VALU_DEP_2) | instskip(SKIP_4) | instid1(VALU_DEP_3)
	v_dual_add_f32 v4, v7, v11 :: v_dual_fmac_f32 v23, -0.5, v9
	ds_store_b128 v217, v[0:3] offset:32
	v_add_f32_e32 v1, v31, v7
	v_sub_f32_e32 v3, v7, v11
	v_dual_add_f32 v8, v8, v19 :: v_dual_fmac_f32 v31, -0.5, v4
	v_dual_add_f32 v7, v1, v11 :: v_dual_add_f32 v0, v30, v6
	v_add_f32_e32 v1, v14, v18
	v_sub_f32_e32 v11, v14, v18
	s_delay_alu instid0(VALU_DEP_1) | instskip(SKIP_1) | instid1(VALU_DEP_4)
	v_dual_add_f32 v2, v6, v10 :: v_dual_fmamk_f32 v9, v11, 0x3f5db3d7, v23
	v_fmac_f32_e32 v23, 0xbf5db3d7, v11
	v_fma_f32 v11, -0.5, v1, v22
	v_dual_add_f32 v1, v7, v8 :: v_dual_add_f32 v6, v0, v10
	v_sub_f32_e32 v10, v15, v19
	v_dual_add_f32 v0, v22, v14 :: v_dual_mul_f32 v15, 0xbf5db3d7, v9
	v_mul_f32_e32 v9, 0.5, v9
	s_delay_alu instid0(VALU_DEP_3) | instskip(SKIP_1) | instid1(VALU_DEP_2)
	v_dual_mul_f32 v13, 0xbf5db3d7, v23 :: v_dual_fmamk_f32 v4, v10, 0xbf5db3d7, v11
	v_fmac_f32_e32 v11, 0x3f5db3d7, v10
	v_fmac_f32_e32 v9, 0x3f5db3d7, v4
	v_dual_sub_f32 v7, v7, v8 :: v_dual_fmamk_f32 v8, v5, 0x3f5db3d7, v31
	v_dual_mul_f32 v14, -0.5, v23 :: v_dual_fmac_f32 v31, 0xbf5db3d7, v5
	v_dual_add_f32 v12, v0, v18 :: v_dual_fmac_f32 v15, 0.5, v4
	v_fma_f32 v10, -0.5, v2, v30
	s_delay_alu instid0(VALU_DEP_2) | instskip(SKIP_1) | instid1(VALU_DEP_3)
	v_dual_fmac_f32 v13, -0.5, v11 :: v_dual_add_f32 v0, v6, v12
	v_sub_f32_e32 v6, v6, v12
	v_fmamk_f32 v12, v3, 0xbf5db3d7, v10
	v_dual_fmac_f32 v10, 0x3f5db3d7, v3 :: v_dual_add_f32 v3, v8, v9
	v_fmac_f32_e32 v14, 0x3f5db3d7, v11
	scratch_load_b32 v11, off, off offset:80 th:TH_LOAD_LU ; 4-byte Folded Reload
	v_add_f32_e32 v2, v12, v15
	v_dual_add_f32 v4, v10, v13 :: v_dual_add_f32 v5, v31, v14
	s_wait_loadcnt 0x0
	ds_store_b128 v11, v[0:3]
	ds_store_b128 v11, v[4:7] offset:16
	v_dual_sub_f32 v3, v31, v14 :: v_dual_sub_f32 v2, v10, v13
	v_sub_f32_e32 v1, v8, v9
	v_sub_f32_e32 v0, v12, v15
	ds_store_b128 v11, v[0:3] offset:32
	global_wb scope:SCOPE_SE
	s_wait_dscnt 0x0
	s_barrier_signal -1
	s_barrier_wait -1
	global_inv scope:SCOPE_SE
	ds_load_2addr_b64 v[0:3], v162 offset0:64 offset1:208
	ds_load_2addr_b64 v[29:32], v209 offset0:32 offset1:176
	ds_load_2addr_b64 v[4:7], v46 offset1:144
	ds_load_2addr_b64 v[20:23], v156 offset0:96 offset1:240
	ds_load_2addr_b64 v[12:15], v159 offset0:32 offset1:176
	s_wait_dscnt 0x3
	v_dual_mul_f32 v216, v137, v1 :: v_dual_mul_f32 v9, v135, v32
	s_wait_dscnt 0x2
	v_mul_f32_e32 v27, v139, v5
	v_mul_f32_e32 v17, v147, v7
	;; [unrolled: 1-line block ×3, first 2 shown]
	v_fmac_f32_e32 v216, v136, v0
	v_dual_mul_f32 v0, v137, v0 :: v_dual_fmac_f32 v9, v134, v31
	v_fmac_f32_e32 v27, v138, v4
	v_fmac_f32_e32 v17, v146, v6
	;; [unrolled: 1-line block ×3, first 2 shown]
	s_delay_alu instid0(VALU_DEP_4) | instskip(SKIP_4) | instid1(VALU_DEP_3)
	v_fma_f32 v217, v136, v1, -v0
	v_mul_f32_e32 v0, v139, v4
	v_mul_f32_e32 v26, v143, v30
	s_wait_dscnt 0x0
	v_mul_f32_e32 v28, v127, v13
	v_fma_f32 v33, v138, v5, -v0
	v_mul_f32_e32 v0, v145, v2
	v_fmac_f32_e32 v26, v142, v29
	s_delay_alu instid0(VALU_DEP_4) | instskip(NEXT) | instid1(VALU_DEP_3)
	v_fmac_f32_e32 v28, v126, v12
	v_fma_f32 v8, v144, v3, -v0
	v_mul_f32_e32 v0, v147, v6
	s_delay_alu instid0(VALU_DEP_1) | instskip(SKIP_4) | instid1(VALU_DEP_1)
	v_fma_f32 v11, v146, v7, -v0
	ds_load_2addr_b64 v[4:7], v212 offset1:144
	ds_load_2addr_b64 v[0:3], v47 offset0:64 offset1:208
	s_wait_dscnt 0x1
	v_mul_f32_e32 v36, v155, v5
	v_fmac_f32_e32 v36, v154, v4
	s_wait_dscnt 0x0
	v_mul_f32_e32 v34, v153, v1
	s_delay_alu instid0(VALU_DEP_1) | instskip(SKIP_3) | instid1(VALU_DEP_3)
	v_fmac_f32_e32 v34, v152, v0
	v_mul_f32_e32 v0, v153, v0
	v_mul_f32_e32 v220, v151, v7
	;; [unrolled: 1-line block ×3, first 2 shown]
	v_fma_f32 v35, v152, v1, -v0
	v_mul_f32_e32 v0, v155, v4
	s_delay_alu instid0(VALU_DEP_4) | instskip(NEXT) | instid1(VALU_DEP_4)
	v_fmac_f32_e32 v220, v150, v6
	v_fmac_f32_e32 v18, v148, v2
	v_mul_f32_e32 v10, v135, v31
	s_delay_alu instid0(VALU_DEP_4) | instskip(SKIP_1) | instid1(VALU_DEP_3)
	v_fma_f32 v37, v154, v5, -v0
	v_mul_f32_e32 v0, v149, v2
	v_fma_f32 v10, v134, v32, -v10
	s_delay_alu instid0(VALU_DEP_3) | instskip(NEXT) | instid1(VALU_DEP_3)
	v_sub_f32_e32 v42, v33, v37
	v_fma_f32 v218, v148, v3, -v0
	v_mul_f32_e32 v0, v151, v6
	v_dual_mul_f32 v3, v131, v15 :: v_dual_mul_f32 v24, v141, v21
	s_delay_alu instid0(VALU_DEP_2)
	v_fma_f32 v219, v150, v7, -v0
	ds_load_2addr_b64 v[4:7], v249 offset0:96 offset1:240
	v_dual_fmac_f32 v3, v130, v14 :: v_dual_fmac_f32 v24, v140, v20
	s_wait_dscnt 0x0
	v_mul_f32_e32 v0, v125, v4
	v_mul_f32_e32 v2, v125, v5
	;; [unrolled: 1-line block ×3, first 2 shown]
	s_delay_alu instid0(VALU_DEP_3) | instskip(SKIP_1) | instid1(VALU_DEP_4)
	v_fma_f32 v5, v124, v5, -v0
	v_mul_f32_e32 v0, v127, v12
	v_fmac_f32_e32 v2, v124, v4
	s_delay_alu instid0(VALU_DEP_4) | instskip(SKIP_1) | instid1(VALU_DEP_4)
	v_fma_f32 v1, v128, v7, -v1
	v_mul_f32_e32 v4, v131, v14
	v_fma_f32 v19, v126, v13, -v0
	v_mul_f32_e32 v0, v129, v7
	v_mul_f32_e32 v7, v133, v22
	s_delay_alu instid0(VALU_DEP_4) | instskip(NEXT) | instid1(VALU_DEP_3)
	v_fma_f32 v4, v130, v15, -v4
	v_fmac_f32_e32 v0, v128, v6
	v_mul_f32_e32 v6, v141, v20
	s_delay_alu instid0(VALU_DEP_4) | instskip(NEXT) | instid1(VALU_DEP_2)
	v_fma_f32 v7, v132, v23, -v7
	v_fma_f32 v25, v140, v21, -v6
	v_mul_f32_e32 v6, v143, v29
	s_delay_alu instid0(VALU_DEP_1) | instskip(SKIP_2) | instid1(VALU_DEP_1)
	v_fma_f32 v14, v142, v30, -v6
	ds_load_2addr_b64 v[29:32], v203 offset1:144
	v_mul_f32_e32 v6, v133, v23
	v_fmac_f32_e32 v6, v132, v22
	ds_load_2addr_b64 v[20:23], v213 offset0:64 offset1:208
	s_wait_dscnt 0x0
	v_mul_f32_e32 v12, v202, v20
	v_mul_f32_e32 v38, v202, v21
	s_delay_alu instid0(VALU_DEP_2) | instskip(SKIP_1) | instid1(VALU_DEP_2)
	v_fma_f32 v39, v201, v21, -v12
	v_mul_f32_e32 v12, v164, v22
	v_dual_fmac_f32 v38, v201, v20 :: v_dual_sub_f32 v125, v35, v39
	s_delay_alu instid0(VALU_DEP_2) | instskip(SKIP_1) | instid1(VALU_DEP_1)
	v_fma_f32 v41, v163, v23, -v12
	v_mul_f32_e32 v40, v164, v23
	v_fmac_f32_e32 v40, v163, v22
	ds_load_2addr_b64 v[20:23], v241 offset0:96 offset1:240
	s_wait_dscnt 0x0
	v_mul_f32_e32 v15, v166, v21
	v_dual_mul_f32 v12, v166, v20 :: v_dual_mul_f32 v13, v168, v23
	s_delay_alu instid0(VALU_DEP_2) | instskip(NEXT) | instid1(VALU_DEP_2)
	v_fmac_f32_e32 v15, v165, v20
	v_fma_f32 v20, v165, v21, -v12
	v_dual_mul_f32 v12, v168, v22 :: v_dual_add_f32 v21, v29, v27
	s_delay_alu instid0(VALU_DEP_4) | instskip(SKIP_1) | instid1(VALU_DEP_3)
	v_fmac_f32_e32 v13, v167, v22
	v_add_f32_e32 v22, v27, v36
	v_fma_f32 v12, v167, v23, -v12
	v_sub_f32_e32 v23, v27, v36
	v_add_f32_e32 v27, v21, v36
	v_add_f32_e32 v21, v30, v33
	;; [unrolled: 1-line block ×5, first 2 shown]
	s_delay_alu instid0(VALU_DEP_4) | instskip(SKIP_1) | instid1(VALU_DEP_4)
	v_dual_sub_f32 v124, v34, v38 :: v_dual_add_f32 v37, v21, v37
	v_add_f32_e32 v21, v35, v39
	v_add_f32_e32 v39, v33, v39
	v_fma_f32 v128, -0.5, v36, v30
	v_fma_f32 v127, -0.5, v22, v29
	s_delay_alu instid0(VALU_DEP_4)
	v_fmac_f32_e32 v217, -0.5, v21
	v_add_f32_e32 v21, v216, v34
	ds_load_2addr_b64 v[33:36], v229 offset0:32 offset1:176
	global_wb scope:SCOPE_SE
	s_wait_dscnt 0x0
	s_barrier_signal -1
	s_barrier_wait -1
	global_inv scope:SCOPE_SE
	scratch_load_b32 v47, off, off offset:100 th:TH_LOAD_LU ; 4-byte Folded Reload
	v_add_f32_e32 v38, v21, v38
	v_dual_fmac_f32 v216, -0.5, v43 :: v_dual_fmamk_f32 v21, v124, 0x3f5db3d7, v217
	v_fmamk_f32 v129, v42, 0xbf5db3d7, v127
	v_fmamk_f32 v130, v23, 0x3f5db3d7, v128
	v_dual_add_f32 v22, v37, v39 :: v_dual_fmac_f32 v217, 0xbf5db3d7, v124
	s_delay_alu instid0(VALU_DEP_4)
	v_mul_f32_e32 v43, 0xbf5db3d7, v21
	v_dual_mul_f32 v126, 0.5, v21 :: v_dual_fmamk_f32 v21, v125, 0xbf5db3d7, v216
	v_fmac_f32_e32 v128, 0xbf5db3d7, v23
	v_fmac_f32_e32 v216, 0x3f5db3d7, v125
	v_mul_f32_e32 v23, 0xbf5db3d7, v217
	v_fmac_f32_e32 v127, 0x3f5db3d7, v42
	v_fmac_f32_e32 v43, 0.5, v21
	v_dual_fmac_f32 v126, 0x3f5db3d7, v21 :: v_dual_add_f32 v21, v27, v38
	s_delay_alu instid0(VALU_DEP_4) | instskip(NEXT) | instid1(VALU_DEP_2)
	v_fmac_f32_e32 v23, -0.5, v216
	v_dual_add_f32 v29, v129, v43 :: v_dual_add_f32 v30, v130, v126
	s_wait_loadcnt 0x0
	ds_store_2addr_b64 v47, v[21:22], v[29:30] offset1:6
	v_sub_f32_e32 v21, v27, v38
	v_dual_mul_f32 v27, -0.5, v217 :: v_dual_sub_f32 v22, v37, v39
	v_add_f32_e32 v29, v127, v23
	v_sub_f32_e32 v39, v218, v41
	v_sub_f32_e32 v37, v18, v40
	s_delay_alu instid0(VALU_DEP_4) | instskip(NEXT) | instid1(VALU_DEP_1)
	v_fmac_f32_e32 v27, 0x3f5db3d7, v216
	v_add_f32_e32 v30, v128, v27
	ds_store_2addr_b64 v47, v[29:30], v[21:22] offset0:12 offset1:18
	v_dual_sub_f32 v21, v129, v43 :: v_dual_sub_f32 v22, v130, v126
	v_sub_f32_e32 v29, v127, v23
	v_dual_sub_f32 v30, v128, v27 :: v_dual_sub_f32 v23, v17, v220
	ds_store_2addr_b64 v47, v[21:22], v[29:30] offset0:24 offset1:30
	scratch_load_b32 v47, off, off offset:96 th:TH_LOAD_LU ; 4-byte Folded Reload
	v_dual_add_f32 v21, v31, v17 :: v_dual_add_f32 v22, v17, v220
	v_add_f32_e32 v17, v11, v219
	v_add_f32_e32 v29, v8, v218
	s_delay_alu instid0(VALU_DEP_3) | instskip(NEXT) | instid1(VALU_DEP_3)
	v_add_f32_e32 v27, v21, v220
	v_dual_add_f32 v21, v32, v11 :: v_dual_fmac_f32 v32, -0.5, v17
	v_add_f32_e32 v17, v218, v41
	v_sub_f32_e32 v11, v11, v219
	v_add_f32_e32 v29, v29, v41
	s_delay_alu instid0(VALU_DEP_4) | instskip(NEXT) | instid1(VALU_DEP_4)
	v_dual_add_f32 v30, v21, v219 :: v_dual_add_f32 v21, v18, v40
	v_dual_fmac_f32 v8, -0.5, v17 :: v_dual_add_f32 v17, v16, v18
	v_fma_f32 v31, -0.5, v22, v31
	v_fmamk_f32 v43, v23, 0x3f5db3d7, v32
	s_delay_alu instid0(VALU_DEP_4)
	v_fmac_f32_e32 v16, -0.5, v21
	v_fmac_f32_e32 v32, 0xbf5db3d7, v23
	v_add_f32_e32 v38, v17, v40
	v_fmamk_f32 v17, v37, 0x3f5db3d7, v8
	v_dual_sub_f32 v23, v24, v15 :: v_dual_fmamk_f32 v42, v11, 0xbf5db3d7, v31
	v_add_f32_e32 v18, v30, v29
	v_fmac_f32_e32 v8, 0xbf5db3d7, v37
	s_delay_alu instid0(VALU_DEP_4)
	v_mul_f32_e32 v40, 0xbf5db3d7, v17
	v_mul_f32_e32 v41, 0.5, v17
	v_fmamk_f32 v17, v39, 0xbf5db3d7, v16
	v_fmac_f32_e32 v16, 0x3f5db3d7, v39
	v_fmac_f32_e32 v31, 0x3f5db3d7, v11
	v_mul_f32_e32 v11, -0.5, v8
	v_mul_f32_e32 v8, 0xbf5db3d7, v8
	v_fmac_f32_e32 v40, 0.5, v17
	v_fmac_f32_e32 v41, 0x3f5db3d7, v17
	v_add_f32_e32 v17, v27, v38
	v_fmac_f32_e32 v11, 0x3f5db3d7, v16
	v_fmac_f32_e32 v8, -0.5, v16
	s_delay_alu instid0(VALU_DEP_4) | instskip(NEXT) | instid1(VALU_DEP_2)
	v_dual_add_f32 v21, v42, v40 :: v_dual_add_f32 v22, v43, v41
	v_sub_f32_e32 v16, v31, v8
	s_wait_loadcnt 0x0
	ds_store_2addr_b64 v47, v[17:18], v[21:22] offset1:6
	v_sub_f32_e32 v18, v30, v29
	scratch_load_b32 v30, off, off offset:92 th:TH_LOAD_LU ; 4-byte Folded Reload
	v_dual_sub_f32 v17, v27, v38 :: v_dual_add_f32 v22, v32, v11
	v_add_f32_e32 v21, v31, v8
	ds_store_2addr_b64 v47, v[21:22], v[17:18] offset0:12 offset1:18
	v_sub_f32_e32 v17, v32, v11
	v_dual_sub_f32 v21, v42, v40 :: v_dual_sub_f32 v22, v43, v41
	v_sub_f32_e32 v18, v28, v26
	v_add_f32_e32 v11, v28, v26
	ds_store_2addr_b64 v47, v[21:22], v[16:17] offset0:24 offset1:30
	v_dual_add_f32 v16, v34, v19 :: v_dual_sub_f32 v21, v19, v14
	v_dual_add_f32 v17, v19, v14 :: v_dual_add_f32 v22, v24, v15
	v_fma_f32 v11, -0.5, v11, v33
	s_delay_alu instid0(VALU_DEP_3) | instskip(SKIP_1) | instid1(VALU_DEP_4)
	v_dual_add_f32 v19, v16, v14 :: v_dual_add_f32 v14, v25, v20
	v_add_f32_e32 v16, v5, v25
	v_fma_f32 v27, -0.5, v17, v34
	v_sub_f32_e32 v25, v25, v20
	s_delay_alu instid0(VALU_DEP_4) | instskip(NEXT) | instid1(VALU_DEP_3)
	v_dual_fmac_f32 v5, -0.5, v14 :: v_dual_add_f32 v14, v2, v24
	v_dual_fmac_f32 v2, -0.5, v22 :: v_dual_fmamk_f32 v29, v18, 0x3f5db3d7, v27
	v_dual_fmac_f32 v27, 0xbf5db3d7, v18 :: v_dual_add_f32 v8, v33, v28
	s_delay_alu instid0(VALU_DEP_3) | instskip(NEXT) | instid1(VALU_DEP_4)
	v_add_f32_e32 v24, v14, v15
	v_fmamk_f32 v14, v23, 0x3f5db3d7, v5
	v_add_f32_e32 v20, v16, v20
	v_fmamk_f32 v28, v21, 0xbf5db3d7, v11
	v_dual_add_f32 v8, v8, v26 :: v_dual_fmac_f32 v5, 0xbf5db3d7, v23
	s_delay_alu instid0(VALU_DEP_4) | instskip(SKIP_3) | instid1(VALU_DEP_2)
	v_mul_f32_e32 v22, 0xbf5db3d7, v14
	v_mul_f32_e32 v26, 0.5, v14
	v_dual_fmamk_f32 v14, v25, 0xbf5db3d7, v2 :: v_dual_add_f32 v15, v19, v20
	v_fmac_f32_e32 v2, 0x3f5db3d7, v25
	v_dual_fmac_f32 v11, 0x3f5db3d7, v21 :: v_dual_fmac_f32 v22, 0.5, v14
	s_delay_alu instid0(VALU_DEP_4) | instskip(SKIP_1) | instid1(VALU_DEP_3)
	v_fmac_f32_e32 v26, 0x3f5db3d7, v14
	v_add_f32_e32 v14, v8, v24
	v_add_f32_e32 v16, v28, v22
	s_delay_alu instid0(VALU_DEP_3)
	v_add_f32_e32 v17, v29, v26
	s_wait_loadcnt 0x0
	ds_store_2addr_b64 v30, v[14:15], v[16:17] offset1:6
	v_sub_f32_e32 v14, v8, v24
	v_mul_f32_e32 v8, 0xbf5db3d7, v5
	v_mul_f32_e32 v5, -0.5, v5
	s_delay_alu instid0(VALU_DEP_2) | instskip(NEXT) | instid1(VALU_DEP_2)
	v_dual_sub_f32 v15, v19, v20 :: v_dual_fmac_f32 v8, -0.5, v2
	v_dual_fmac_f32 v5, 0x3f5db3d7, v2 :: v_dual_add_f32 v2, v35, v3
	s_delay_alu instid0(VALU_DEP_2) | instskip(NEXT) | instid1(VALU_DEP_2)
	v_add_f32_e32 v16, v11, v8
	v_add_f32_e32 v17, v27, v5
	ds_store_2addr_b64 v30, v[16:17], v[14:15] offset0:12 offset1:18
	v_sub_f32_e32 v16, v11, v8
	v_sub_f32_e32 v17, v27, v5
	v_add_f32_e32 v5, v3, v9
	v_sub_f32_e32 v8, v3, v9
	v_dual_add_f32 v9, v2, v9 :: v_dual_add_f32 v2, v36, v4
	v_sub_f32_e32 v11, v4, v10
	v_add_f32_e32 v3, v4, v10
	v_sub_f32_e32 v14, v28, v22
	v_sub_f32_e32 v15, v29, v26
	v_add_f32_e32 v10, v2, v10
	v_add_f32_e32 v2, v0, v6
	;; [unrolled: 1-line block ×3, first 2 shown]
	v_sub_f32_e32 v6, v6, v13
	ds_store_2addr_b64 v30, v[14:15], v[16:17] offset0:24 offset1:30
	v_dual_add_f32 v14, v1, v7 :: v_dual_add_f32 v13, v2, v13
	v_add_f32_e32 v2, v7, v12
	v_sub_f32_e32 v7, v7, v12
	v_fmac_f32_e32 v0, -0.5, v4
	s_delay_alu instid0(VALU_DEP_4) | instskip(NEXT) | instid1(VALU_DEP_4)
	v_add_f32_e32 v12, v14, v12
	v_dual_fmac_f32 v36, -0.5, v3 :: v_dual_fmac_f32 v1, -0.5, v2
	v_fma_f32 v16, -0.5, v5, v35
	s_delay_alu instid0(VALU_DEP_2) | instskip(NEXT) | instid1(VALU_DEP_3)
	v_dual_add_f32 v3, v10, v12 :: v_dual_fmamk_f32 v18, v8, 0x3f5db3d7, v36
	v_fmamk_f32 v2, v6, 0x3f5db3d7, v1
	s_delay_alu instid0(VALU_DEP_3)
	v_fmamk_f32 v17, v11, 0xbf5db3d7, v16
	v_fmac_f32_e32 v1, 0xbf5db3d7, v6
	v_fmac_f32_e32 v16, 0x3f5db3d7, v11
	;; [unrolled: 1-line block ×3, first 2 shown]
	v_mul_f32_e32 v14, 0xbf5db3d7, v2
	v_dual_mul_f32 v15, 0.5, v2 :: v_dual_fmamk_f32 v2, v7, 0xbf5db3d7, v0
	v_fmac_f32_e32 v0, 0x3f5db3d7, v7
	s_delay_alu instid0(VALU_DEP_2) | instskip(NEXT) | instid1(VALU_DEP_3)
	v_fmac_f32_e32 v14, 0.5, v2
	v_dual_fmac_f32 v15, 0x3f5db3d7, v2 :: v_dual_add_f32 v2, v9, v13
	s_delay_alu instid0(VALU_DEP_1) | instskip(SKIP_4) | instid1(VALU_DEP_3)
	v_dual_add_f32 v4, v17, v14 :: v_dual_add_f32 v5, v18, v15
	ds_store_2addr_b64 v238, v[2:3], v[4:5] offset1:6
	v_mul_f32_e32 v4, 0xbf5db3d7, v1
	v_mul_f32_e32 v5, -0.5, v1
	v_dual_sub_f32 v2, v9, v13 :: v_dual_sub_f32 v3, v10, v12
	v_fmac_f32_e32 v4, -0.5, v0
	s_delay_alu instid0(VALU_DEP_3) | instskip(NEXT) | instid1(VALU_DEP_2)
	v_fmac_f32_e32 v5, 0x3f5db3d7, v0
	v_add_f32_e32 v0, v16, v4
	s_delay_alu instid0(VALU_DEP_2)
	v_add_f32_e32 v1, v36, v5
	ds_store_2addr_b64 v238, v[0:1], v[2:3] offset0:12 offset1:18
	v_sub_f32_e32 v1, v36, v5
	v_sub_f32_e32 v0, v16, v4
	v_dual_sub_f32 v2, v17, v14 :: v_dual_sub_f32 v3, v18, v15
	ds_store_2addr_b64 v238, v[2:3], v[0:1] offset0:24 offset1:30
	global_wb scope:SCOPE_SE
	s_wait_dscnt 0x0
	s_barrier_signal -1
	s_barrier_wait -1
	global_inv scope:SCOPE_SE
	ds_load_2addr_b64 v[2:5], v162 offset0:64 offset1:208
	ds_load_2addr_b64 v[8:11], v46 offset1:144
	ds_load_2addr_b64 v[21:24], v212 offset1:144
	ds_load_2addr_b64 v[26:29], v249 offset0:96 offset1:240
	ds_load_2addr_b64 v[30:33], v159 offset0:32 offset1:176
	s_wait_dscnt 0x4
	v_mul_f32_e32 v0, v77, v2
	s_wait_dscnt 0x3
	v_dual_mul_f32 v34, v79, v9 :: v_dual_mul_f32 v7, v77, v3
	s_wait_dscnt 0x1
	v_mul_f32_e32 v1, v81, v28
	v_fma_f32 v15, v76, v3, -v0
	v_mul_f32_e32 v0, v79, v8
	v_dual_fmac_f32 v34, v78, v8 :: v_dual_mul_f32 v3, v65, v5
	v_fmac_f32_e32 v7, v76, v2
	v_fma_f32 v1, v80, v29, -v1
	s_delay_alu instid0(VALU_DEP_4) | instskip(SKIP_2) | instid1(VALU_DEP_2)
	v_fma_f32 v35, v78, v9, -v0
	v_mul_f32_e32 v0, v65, v4
	v_fmac_f32_e32 v3, v64, v4
	v_fma_f32 v6, v64, v5, -v0
	v_mul_f32_e32 v0, v67, v10
	s_wait_dscnt 0x0
	v_mul_f32_e32 v5, v83, v33
	s_delay_alu instid0(VALU_DEP_2) | instskip(NEXT) | instid1(VALU_DEP_2)
	v_fma_f32 v18, v66, v11, -v0
	v_dual_mul_f32 v16, v67, v11 :: v_dual_fmac_f32 v5, v82, v32
	s_delay_alu instid0(VALU_DEP_1) | instskip(SKIP_2) | instid1(VALU_DEP_1)
	v_fmac_f32_e32 v16, v66, v10
	ds_load_2addr_b64 v[8:11], v45 offset0:64 offset1:208
	v_mul_f32_e32 v38, v59, v22
	v_fmac_f32_e32 v38, v58, v21
	s_wait_dscnt 0x0
	v_mul_f32_e32 v0, v57, v8
	v_mul_f32_e32 v19, v61, v11
	;; [unrolled: 1-line block ×3, first 2 shown]
	s_delay_alu instid0(VALU_DEP_3) | instskip(NEXT) | instid1(VALU_DEP_3)
	v_fma_f32 v37, v56, v9, -v0
	v_dual_mul_f32 v0, v59, v21 :: v_dual_fmac_f32 v19, v60, v10
	s_delay_alu instid0(VALU_DEP_3) | instskip(SKIP_1) | instid1(VALU_DEP_3)
	v_fmac_f32_e32 v36, v56, v8
	v_mul_f32_e32 v8, v83, v32
	v_fma_f32 v39, v58, v22, -v0
	v_mul_f32_e32 v0, v61, v10
	v_mul_f32_e32 v22, v63, v24
	s_delay_alu instid0(VALU_DEP_4) | instskip(NEXT) | instid1(VALU_DEP_4)
	v_fma_f32 v8, v82, v33, -v8
	v_sub_f32_e32 v59, v35, v39
	s_delay_alu instid0(VALU_DEP_4) | instskip(SKIP_2) | instid1(VALU_DEP_2)
	v_fma_f32 v21, v60, v11, -v0
	v_mul_f32_e32 v0, v63, v23
	v_mul_f32_e32 v11, v87, v31
	v_fma_f32 v25, v62, v24, -v0
	v_mul_f32_e32 v0, v85, v26
	v_fmac_f32_e32 v22, v62, v23
	s_delay_alu instid0(VALU_DEP_4) | instskip(NEXT) | instid1(VALU_DEP_3)
	v_dual_mul_f32 v2, v85, v27 :: v_dual_fmac_f32 v11, v86, v30
	v_fma_f32 v4, v84, v27, -v0
	v_mul_f32_e32 v0, v87, v30
	s_delay_alu instid0(VALU_DEP_3) | instskip(NEXT) | instid1(VALU_DEP_2)
	v_fmac_f32_e32 v2, v84, v26
	v_fma_f32 v13, v86, v31, -v0
	v_mul_f32_e32 v0, v81, v29
	ds_load_2addr_b64 v[30:33], v209 offset0:32 offset1:176
	v_fmac_f32_e32 v0, v80, v28
	ds_load_2addr_b64 v[26:29], v156 offset0:96 offset1:240
	s_wait_dscnt 0x1
	v_mul_f32_e32 v40, v71, v31
	v_mul_f32_e32 v12, v75, v33
	s_wait_dscnt 0x0
	v_dual_mul_f32 v14, v75, v32 :: v_dual_mul_f32 v9, v69, v26
	v_mul_f32_e32 v23, v69, v27
	v_mul_f32_e32 v10, v73, v28
	v_fmac_f32_e32 v40, v70, v30
	v_fmac_f32_e32 v12, v74, v32
	v_fma_f32 v24, v68, v27, -v9
	v_mul_f32_e32 v9, v71, v30
	v_fmac_f32_e32 v23, v68, v26
	v_fma_f32 v10, v72, v29, -v10
	v_fma_f32 v14, v74, v33, -v14
	v_add_f32_e32 v60, v7, v36
	v_fma_f32 v41, v70, v31, -v9
	v_mul_f32_e32 v9, v73, v29
	s_delay_alu instid0(VALU_DEP_1)
	v_fmac_f32_e32 v9, v72, v28
	ds_load_2addr_b64 v[26:29], v213 offset0:64 offset1:208
	s_wait_dscnt 0x0
	v_mul_f32_e32 v17, v178, v26
	v_mul_f32_e32 v30, v178, v27
	;; [unrolled: 1-line block ×3, first 2 shown]
	s_delay_alu instid0(VALU_DEP_3) | instskip(NEXT) | instid1(VALU_DEP_3)
	v_fma_f32 v31, v177, v27, -v17
	v_dual_mul_f32 v17, v184, v28 :: v_dual_fmac_f32 v30, v177, v26
	s_delay_alu instid0(VALU_DEP_3) | instskip(NEXT) | instid1(VALU_DEP_2)
	v_fmac_f32_e32 v42, v183, v28
	v_fma_f32 v43, v183, v29, -v17
	ds_load_2addr_b64 v[26:29], v241 offset0:96 offset1:240
	s_wait_dscnt 0x0
	v_mul_f32_e32 v17, v190, v26
	v_mul_f32_e32 v56, v190, v27
	;; [unrolled: 1-line block ×3, first 2 shown]
	s_delay_alu instid0(VALU_DEP_3) | instskip(NEXT) | instid1(VALU_DEP_3)
	v_fma_f32 v57, v189, v27, -v17
	v_dual_mul_f32 v17, v194, v29 :: v_dual_fmac_f32 v56, v189, v26
	s_delay_alu instid0(VALU_DEP_3) | instskip(NEXT) | instid1(VALU_DEP_2)
	v_fma_f32 v20, v193, v29, -v20
	v_dual_add_f32 v60, v60, v30 :: v_dual_fmac_f32 v17, v193, v28
	ds_load_2addr_b64 v[26:29], v203 offset1:144
	s_wait_dscnt 0x0
	v_dual_add_f32 v32, v26, v34 :: v_dual_add_f32 v33, v27, v35
	s_delay_alu instid0(VALU_DEP_1)
	v_add_f32_e32 v58, v32, v38
	v_add_f32_e32 v32, v34, v38
	v_sub_f32_e32 v38, v34, v38
	v_add_f32_e32 v34, v35, v39
	v_add_f32_e32 v39, v33, v39
	;; [unrolled: 1-line block ×4, first 2 shown]
	v_sub_f32_e32 v37, v37, v31
	v_fma_f32 v64, -0.5, v32, v26
	v_fma_f32 v65, -0.5, v34, v27
	v_fmac_f32_e32 v15, -0.5, v33
	v_add_f32_e32 v33, v36, v30
	v_dual_sub_f32 v36, v36, v30 :: v_dual_add_f32 v61, v35, v31
	v_fmamk_f32 v66, v59, 0xbf5db3d7, v64
	v_fmamk_f32 v67, v38, 0x3f5db3d7, v65
	s_delay_alu instid0(VALU_DEP_4) | instskip(NEXT) | instid1(VALU_DEP_4)
	v_fmac_f32_e32 v7, -0.5, v33
	v_fmamk_f32 v30, v36, 0x3f5db3d7, v15
	v_fmac_f32_e32 v15, 0xbf5db3d7, v36
	v_dual_add_f32 v26, v58, v60 :: v_dual_add_f32 v27, v39, v61
	v_fmac_f32_e32 v64, 0x3f5db3d7, v59
	s_delay_alu instid0(VALU_DEP_4)
	v_mul_f32_e32 v62, 0xbf5db3d7, v30
	v_dual_mul_f32 v63, 0.5, v30 :: v_dual_fmamk_f32 v30, v37, 0xbf5db3d7, v7
	v_fmac_f32_e32 v7, 0x3f5db3d7, v37
	v_mul_f32_e32 v36, 0xbf5db3d7, v15
	v_mul_f32_e32 v15, -0.5, v15
	v_fmac_f32_e32 v65, 0xbf5db3d7, v38
	v_fmac_f32_e32 v62, 0.5, v30
	v_fmac_f32_e32 v63, 0x3f5db3d7, v30
	ds_load_2addr_b64 v[30:33], v229 offset0:32 offset1:176
	global_wb scope:SCOPE_SE
	s_wait_dscnt 0x0
	s_barrier_signal -1
	s_barrier_wait -1
	global_inv scope:SCOPE_SE
	scratch_load_b32 v47, off, off offset:116 th:TH_LOAD_LU ; 4-byte Folded Reload
	v_dual_add_f32 v34, v66, v62 :: v_dual_add_f32 v35, v67, v63
	v_fmac_f32_e32 v36, -0.5, v7
	v_fmac_f32_e32 v15, 0x3f5db3d7, v7
	v_add_f32_e32 v7, v18, v25
	s_wait_loadcnt 0x0
	ds_store_2addr_b64 v47, v[26:27], v[34:35] offset1:36
	v_dual_sub_f32 v26, v58, v60 :: v_dual_sub_f32 v27, v39, v61
	v_dual_add_f32 v34, v64, v36 :: v_dual_add_f32 v35, v65, v15
	ds_store_2addr_b64 v47, v[34:35], v[26:27] offset0:72 offset1:108
	v_dual_sub_f32 v26, v66, v62 :: v_dual_sub_f32 v27, v67, v63
	v_dual_sub_f32 v34, v64, v36 :: v_dual_sub_f32 v35, v65, v15
	v_add_f32_e32 v15, v29, v18
	v_fmac_f32_e32 v29, -0.5, v7
	v_add_f32_e32 v7, v28, v16
	ds_store_2addr_b64 v47, v[26:27], v[34:35] offset0:144 offset1:180
	v_sub_f32_e32 v27, v18, v25
	v_add_f32_e32 v25, v15, v25
	v_add_f32_e32 v15, v21, v43
	;; [unrolled: 1-line block ×5, first 2 shown]
	v_sub_f32_e32 v22, v16, v22
	v_add_f32_e32 v16, v6, v21
	v_dual_fmac_f32 v6, -0.5, v15 :: v_dual_add_f32 v15, v19, v42
	v_sub_f32_e32 v34, v19, v42
	v_add_f32_e32 v35, v18, v42
	scratch_load_b32 v42, off, off offset:112 th:TH_LOAD_LU ; 4-byte Folded Reload
	v_sub_f32_e32 v21, v21, v43
	v_fmac_f32_e32 v3, -0.5, v15
	v_fmamk_f32 v15, v34, 0x3f5db3d7, v6
	v_fma_f32 v26, -0.5, v26, v28
	v_dual_add_f32 v36, v16, v43 :: v_dual_fmamk_f32 v39, v22, 0x3f5db3d7, v29
	s_delay_alu instid0(VALU_DEP_3) | instskip(SKIP_1) | instid1(VALU_DEP_4)
	v_dual_fmac_f32 v6, 0xbf5db3d7, v34 :: v_dual_mul_f32 v37, 0xbf5db3d7, v15
	v_dual_mul_f32 v38, 0.5, v15 :: v_dual_fmamk_f32 v15, v21, 0xbf5db3d7, v3
	v_fmamk_f32 v28, v27, 0xbf5db3d7, v26
	s_delay_alu instid0(VALU_DEP_4) | instskip(SKIP_1) | instid1(VALU_DEP_4)
	v_dual_add_f32 v16, v25, v36 :: v_dual_fmac_f32 v3, 0x3f5db3d7, v21
	v_fmac_f32_e32 v26, 0x3f5db3d7, v27
	v_fmac_f32_e32 v37, 0.5, v15
	v_fmac_f32_e32 v38, 0x3f5db3d7, v15
	v_add_f32_e32 v15, v7, v35
	v_dual_fmac_f32 v29, 0xbf5db3d7, v22 :: v_dual_sub_f32 v22, v24, v57
	s_delay_alu instid0(VALU_DEP_3)
	v_dual_add_f32 v18, v28, v37 :: v_dual_add_f32 v19, v39, v38
	s_wait_loadcnt 0x0
	ds_store_2addr_b64 v42, v[15:16], v[18:19] offset1:36
	v_mul_f32_e32 v18, 0xbf5db3d7, v6
	v_mul_f32_e32 v19, -0.5, v6
	v_dual_sub_f32 v15, v7, v35 :: v_dual_sub_f32 v16, v25, v36
	s_delay_alu instid0(VALU_DEP_3) | instskip(NEXT) | instid1(VALU_DEP_3)
	v_fmac_f32_e32 v18, -0.5, v3
	v_fmac_f32_e32 v19, 0x3f5db3d7, v3
	v_add_f32_e32 v3, v30, v11
	s_delay_alu instid0(VALU_DEP_3) | instskip(NEXT) | instid1(VALU_DEP_3)
	v_dual_sub_f32 v21, v23, v56 :: v_dual_add_f32 v6, v26, v18
	v_add_f32_e32 v7, v29, v19
	s_delay_alu instid0(VALU_DEP_3)
	v_add_f32_e32 v3, v3, v40
	ds_store_2addr_b64 v42, v[6:7], v[15:16] offset0:72 offset1:108
	v_dual_sub_f32 v7, v29, v19 :: v_dual_sub_f32 v6, v26, v18
	v_dual_sub_f32 v15, v28, v37 :: v_dual_sub_f32 v16, v39, v38
	v_add_f32_e32 v19, v2, v23
	ds_store_2addr_b64 v42, v[15:16], v[6:7] offset0:144 offset1:180
	v_add_f32_e32 v6, v11, v40
	v_dual_add_f32 v7, v31, v13 :: v_dual_add_f32 v16, v4, v24
	v_add_f32_e32 v15, v13, v41
	v_sub_f32_e32 v11, v11, v40
	s_delay_alu instid0(VALU_DEP_4)
	v_fma_f32 v26, -0.5, v6, v30
	scratch_load_b32 v30, off, off offset:108 th:TH_LOAD_LU ; 4-byte Folded Reload
	v_add_f32_e32 v18, v7, v41
	v_add_f32_e32 v7, v24, v57
	v_sub_f32_e32 v13, v13, v41
	v_fma_f32 v27, -0.5, v15, v31
	s_delay_alu instid0(VALU_DEP_3) | instskip(SKIP_1) | instid1(VALU_DEP_4)
	v_dual_add_f32 v19, v19, v56 :: v_dual_fmac_f32 v4, -0.5, v7
	v_add_f32_e32 v7, v23, v56
	v_dual_add_f32 v23, v16, v57 :: v_dual_fmamk_f32 v28, v13, 0xbf5db3d7, v26
	s_delay_alu instid0(VALU_DEP_4) | instskip(NEXT) | instid1(VALU_DEP_4)
	v_fmamk_f32 v29, v11, 0x3f5db3d7, v27
	v_add_f32_e32 v6, v3, v19
	s_delay_alu instid0(VALU_DEP_4) | instskip(SKIP_4) | instid1(VALU_DEP_4)
	v_fmac_f32_e32 v2, -0.5, v7
	v_fmamk_f32 v7, v21, 0x3f5db3d7, v4
	v_dual_mov_b32 v57, v46 :: v_dual_fmac_f32 v4, 0xbf5db3d7, v21
	v_fmac_f32_e32 v27, 0xbf5db3d7, v11
	v_fmac_f32_e32 v26, 0x3f5db3d7, v13
	v_mul_f32_e32 v24, 0xbf5db3d7, v7
	v_mul_f32_e32 v25, 0.5, v7
	v_fmamk_f32 v7, v22, 0xbf5db3d7, v2
	v_fmac_f32_e32 v2, 0x3f5db3d7, v22
	v_mul_f32_e32 v11, 0xbf5db3d7, v4
	v_mul_f32_e32 v4, -0.5, v4
	v_mov_b32_e32 v56, v45
	v_fmac_f32_e32 v24, 0.5, v7
	v_fmac_f32_e32 v25, 0x3f5db3d7, v7
	v_add_f32_e32 v7, v18, v23
	v_fmac_f32_e32 v11, -0.5, v2
	s_delay_alu instid0(VALU_DEP_4) | instskip(NEXT) | instid1(VALU_DEP_4)
	v_dual_fmac_f32 v4, 0x3f5db3d7, v2 :: v_dual_add_f32 v15, v28, v24
	v_add_f32_e32 v16, v29, v25
	s_delay_alu instid0(VALU_DEP_3)
	v_add_f32_e32 v2, v26, v11
	s_wait_loadcnt 0x0
	ds_store_2addr_b64 v30, v[6:7], v[15:16] offset1:36
	v_sub_f32_e32 v6, v3, v19
	scratch_load_b32 v19, off, off offset:104 th:TH_LOAD_LU ; 4-byte Folded Reload
	v_sub_f32_e32 v7, v18, v23
	v_add_f32_e32 v3, v27, v4
	ds_store_2addr_b64 v30, v[2:3], v[6:7] offset0:72 offset1:108
	v_dual_sub_f32 v2, v28, v24 :: v_dual_sub_f32 v3, v29, v25
	v_dual_sub_f32 v6, v26, v11 :: v_dual_sub_f32 v7, v27, v4
	v_add_f32_e32 v4, v1, v10
	ds_store_2addr_b64 v30, v[2:3], v[6:7] offset0:144 offset1:180
	v_dual_add_f32 v2, v8, v14 :: v_dual_add_f32 v3, v33, v8
	v_dual_sub_f32 v7, v5, v12 :: v_dual_sub_f32 v8, v8, v14
	v_add_f32_e32 v13, v4, v20
	s_delay_alu instid0(VALU_DEP_3) | instskip(NEXT) | instid1(VALU_DEP_4)
	v_dual_fmac_f32 v33, -0.5, v2 :: v_dual_add_f32 v2, v32, v5
	v_add_f32_e32 v11, v3, v14
	v_add_f32_e32 v3, v10, v20
	v_sub_f32_e32 v10, v10, v20
	s_delay_alu instid0(VALU_DEP_4) | instskip(SKIP_1) | instid1(VALU_DEP_4)
	v_fmamk_f32 v18, v7, 0x3f5db3d7, v33
	v_add_f32_e32 v6, v2, v12
	v_dual_add_f32 v2, v5, v12 :: v_dual_fmac_f32 v1, -0.5, v3
	v_add_f32_e32 v3, v9, v17
	v_add_f32_e32 v5, v0, v9
	v_sub_f32_e32 v9, v9, v17
	s_delay_alu instid0(VALU_DEP_4)
	v_fma_f32 v16, -0.5, v2, v32
	v_fmac_f32_e32 v33, 0xbf5db3d7, v7
	v_fmac_f32_e32 v0, -0.5, v3
	v_add_f32_e32 v12, v5, v17
	v_fmamk_f32 v3, v9, 0x3f5db3d7, v1
	v_fmamk_f32 v17, v8, 0xbf5db3d7, v16
	v_fmac_f32_e32 v1, 0xbf5db3d7, v9
	v_fmac_f32_e32 v16, 0x3f5db3d7, v8
	v_add_f32_e32 v2, v6, v12
	v_mul_f32_e32 v14, 0xbf5db3d7, v3
	v_mul_f32_e32 v15, 0.5, v3
	v_fmamk_f32 v3, v10, 0xbf5db3d7, v0
	v_fmac_f32_e32 v0, 0x3f5db3d7, v10
	s_delay_alu instid0(VALU_DEP_2) | instskip(NEXT) | instid1(VALU_DEP_4)
	v_fmac_f32_e32 v14, 0.5, v3
	v_fmac_f32_e32 v15, 0x3f5db3d7, v3
	s_delay_alu instid0(VALU_DEP_2) | instskip(NEXT) | instid1(VALU_DEP_2)
	v_dual_add_f32 v3, v11, v13 :: v_dual_add_f32 v4, v17, v14
	v_add_f32_e32 v5, v18, v15
	s_wait_loadcnt 0x0
	ds_store_2addr_b64 v19, v[2:3], v[4:5] offset1:36
	v_mul_f32_e32 v4, 0xbf5db3d7, v1
	v_dual_mul_f32 v5, -0.5, v1 :: v_dual_sub_f32 v2, v6, v12
	s_delay_alu instid0(VALU_DEP_2) | instskip(NEXT) | instid1(VALU_DEP_2)
	v_dual_sub_f32 v3, v11, v13 :: v_dual_fmac_f32 v4, -0.5, v0
	v_fmac_f32_e32 v5, 0x3f5db3d7, v0
	s_delay_alu instid0(VALU_DEP_1)
	v_dual_add_f32 v0, v16, v4 :: v_dual_add_f32 v1, v33, v5
	ds_store_2addr_b64 v19, v[0:1], v[2:3] offset0:72 offset1:108
	v_dual_sub_f32 v1, v33, v5 :: v_dual_sub_f32 v0, v16, v4
	v_dual_sub_f32 v2, v17, v14 :: v_dual_sub_f32 v3, v18, v15
	ds_store_2addr_b64 v19, v[2:3], v[0:1] offset0:144 offset1:180
	global_wb scope:SCOPE_SE
	s_wait_dscnt 0x0
	s_barrier_signal -1
	s_barrier_wait -1
	global_inv scope:SCOPE_SE
	ds_load_2addr_b64 v[0:3], v249 offset0:96 offset1:240
	ds_load_2addr_b64 v[4:7], v45 offset0:64 offset1:208
	s_wait_dscnt 0x1
	v_mul_f32_e32 v8, v117, v1
	v_mul_f32_e32 v18, v121, v3
	s_wait_dscnt 0x0
	v_mul_f32_e32 v10, v119, v5
	v_mul_f32_e32 v20, v123, v7
	v_fmac_f32_e32 v8, v116, v0
	v_mul_f32_e32 v0, v117, v0
	v_fmac_f32_e32 v18, v120, v2
	v_fmac_f32_e32 v10, v118, v4
	;; [unrolled: 1-line block ×3, first 2 shown]
	s_delay_alu instid0(VALU_DEP_4) | instskip(SKIP_1) | instid1(VALU_DEP_1)
	v_fma_f32 v9, v116, v1, -v0
	v_mul_f32_e32 v0, v119, v4
	v_fma_f32 v11, v118, v5, -v0
	v_mul_f32_e32 v0, v121, v2
	s_delay_alu instid0(VALU_DEP_1) | instskip(SKIP_1) | instid1(VALU_DEP_1)
	v_fma_f32 v19, v120, v3, -v0
	v_mul_f32_e32 v0, v123, v6
	v_fma_f32 v21, v122, v7, -v0
	ds_load_2addr_b64 v[0:3], v46 offset1:144
	ds_load_2addr_b64 v[4:7], v156 offset0:96 offset1:240
	s_wait_dscnt 0x1
	v_mul_f32_e32 v22, v170, v1
	v_mul_f32_e32 v26, v113, v3
	s_wait_dscnt 0x0
	v_mul_f32_e32 v24, v172, v5
	v_mul_f32_e32 v28, v115, v7
	v_fmac_f32_e32 v22, v169, v0
	v_mul_f32_e32 v0, v170, v0
	v_fmac_f32_e32 v26, v112, v2
	v_fmac_f32_e32 v24, v171, v4
	;; [unrolled: 1-line block ×3, first 2 shown]
	s_delay_alu instid0(VALU_DEP_4) | instskip(SKIP_1) | instid1(VALU_DEP_1)
	v_fma_f32 v23, v169, v1, -v0
	v_mul_f32_e32 v0, v172, v4
	v_fma_f32 v25, v171, v5, -v0
	v_mul_f32_e32 v0, v113, v2
	s_delay_alu instid0(VALU_DEP_1) | instskip(SKIP_1) | instid1(VALU_DEP_1)
	v_fma_f32 v27, v112, v3, -v0
	v_mul_f32_e32 v0, v115, v6
	v_fma_f32 v29, v114, v7, -v0
	ds_load_2addr_b64 v[0:3], v159 offset0:32 offset1:176
	ds_load_2addr_b64 v[4:7], v212 offset1:144
	s_wait_dscnt 0x1
	v_mul_f32_e32 v30, v53, v1
	v_mul_f32_e32 v34, v49, v3
	s_wait_dscnt 0x0
	v_mul_f32_e32 v32, v55, v5
	v_mul_f32_e32 v36, v51, v7
	v_fmac_f32_e32 v30, v52, v0
	v_mul_f32_e32 v0, v53, v0
	v_fmac_f32_e32 v34, v48, v2
	v_fmac_f32_e32 v32, v54, v4
	;; [unrolled: 1-line block ×3, first 2 shown]
	s_delay_alu instid0(VALU_DEP_4) | instskip(SKIP_1) | instid1(VALU_DEP_1)
	v_fma_f32 v31, v52, v1, -v0
	v_mul_f32_e32 v0, v55, v4
	v_fma_f32 v33, v54, v5, -v0
	v_mul_f32_e32 v0, v49, v2
	s_delay_alu instid0(VALU_DEP_1) | instskip(SKIP_1) | instid1(VALU_DEP_1)
	v_fma_f32 v35, v48, v3, -v0
	v_mul_f32_e32 v0, v51, v6
	v_fma_f32 v37, v50, v7, -v0
	ds_load_2addr_b64 v[0:3], v209 offset0:32 offset1:176
	s_wait_dscnt 0x0
	v_mul_f32_e32 v4, v161, v1
	v_mul_f32_e32 v38, v158, v3
	s_delay_alu instid0(VALU_DEP_2) | instskip(SKIP_1) | instid1(VALU_DEP_3)
	v_fmac_f32_e32 v4, v160, v0
	v_mul_f32_e32 v0, v161, v0
	v_fmac_f32_e32 v38, v157, v2
	s_delay_alu instid0(VALU_DEP_3) | instskip(NEXT) | instid1(VALU_DEP_3)
	v_sub_f32_e32 v4, v8, v4
	v_fma_f32 v5, v160, v1, -v0
	v_mul_f32_e32 v0, v158, v2
	s_delay_alu instid0(VALU_DEP_3) | instskip(NEXT) | instid1(VALU_DEP_3)
	v_fma_f32 v8, v8, 2.0, -v4
	v_sub_f32_e32 v5, v9, v5
	s_delay_alu instid0(VALU_DEP_3)
	v_fma_f32 v39, v157, v3, -v0
	ds_load_2addr_b64 v[0:3], v213 offset0:64 offset1:208
	v_fma_f32 v9, v9, 2.0, -v5
	s_wait_dscnt 0x0
	v_mul_f32_e32 v40, v174, v1
	v_mul_f32_e32 v42, v176, v3
	s_delay_alu instid0(VALU_DEP_2) | instskip(SKIP_1) | instid1(VALU_DEP_3)
	v_fmac_f32_e32 v40, v173, v0
	v_mul_f32_e32 v0, v174, v0
	v_fmac_f32_e32 v42, v175, v2
	s_delay_alu instid0(VALU_DEP_2) | instskip(SKIP_1) | instid1(VALU_DEP_1)
	v_fma_f32 v41, v173, v1, -v0
	v_mul_f32_e32 v0, v176, v2
	v_fma_f32 v43, v175, v3, -v0
	ds_load_2addr_b64 v[0:3], v241 offset0:96 offset1:240
	s_wait_dscnt 0x0
	v_mul_f32_e32 v44, v180, v1
	v_mul_f32_e32 v46, v182, v3
	s_delay_alu instid0(VALU_DEP_2) | instskip(SKIP_1) | instid1(VALU_DEP_3)
	v_fmac_f32_e32 v44, v179, v0
	v_mul_f32_e32 v0, v180, v0
	v_fmac_f32_e32 v46, v181, v2
	s_delay_alu instid0(VALU_DEP_2) | instskip(SKIP_1) | instid1(VALU_DEP_1)
	v_fma_f32 v45, v179, v1, -v0
	v_mul_f32_e32 v0, v182, v2
	v_fma_f32 v47, v181, v3, -v0
	ds_load_2addr_b64 v[0:3], v203 offset1:144
	s_wait_dscnt 0x0
	v_dual_sub_f32 v6, v0, v10 :: v_dual_sub_f32 v7, v1, v11
	s_delay_alu instid0(VALU_DEP_1) | instskip(NEXT) | instid1(VALU_DEP_2)
	v_fma_f32 v10, v0, 2.0, -v6
	v_fma_f32 v11, v1, 2.0, -v7
	v_dual_add_f32 v12, v6, v5 :: v_dual_sub_f32 v13, v7, v4
	s_delay_alu instid0(VALU_DEP_2) | instskip(NEXT) | instid1(VALU_DEP_2)
	v_dual_sub_f32 v0, v10, v8 :: v_dual_sub_f32 v1, v11, v9
	v_fma_f32 v16, v6, 2.0, -v12
	s_delay_alu instid0(VALU_DEP_3) | instskip(NEXT) | instid1(VALU_DEP_3)
	v_fma_f32 v17, v7, 2.0, -v13
	v_fma_f32 v14, v10, 2.0, -v0
	s_delay_alu instid0(VALU_DEP_4)
	v_fma_f32 v15, v11, 2.0, -v1
	ds_load_2addr_b64 v[4:7], v229 offset0:32 offset1:176
	ds_load_2addr_b64 v[8:11], v162 offset0:64 offset1:208
	global_wb scope:SCOPE_SE
	s_wait_dscnt 0x0
	s_barrier_signal -1
	s_barrier_wait -1
	global_inv scope:SCOPE_SE
	ds_store_2addr_b64 v203, v[14:15], v[16:17] offset1:216
	scratch_load_b32 v16, off, off offset:156 th:TH_LOAD_LU ; 4-byte Folded Reload
	v_dual_sub_f32 v15, v3, v21 :: v_dual_add_nc_u32 v14, 0xd00, v203
	ds_store_2addr_b64 v14, v[0:1], v[12:13] offset0:16 offset1:232
	v_sub_f32_e32 v14, v2, v20
	v_fma_f32 v13, v3, 2.0, -v15
	v_sub_f32_e32 v3, v18, v38
	s_delay_alu instid0(VALU_DEP_3) | instskip(SKIP_1) | instid1(VALU_DEP_3)
	v_fma_f32 v12, v2, 2.0, -v14
	v_sub_f32_e32 v2, v19, v39
	v_fma_f32 v0, v18, 2.0, -v3
	v_sub_f32_e32 v3, v15, v3
	s_delay_alu instid0(VALU_DEP_3) | instskip(NEXT) | instid1(VALU_DEP_3)
	v_fma_f32 v1, v19, 2.0, -v2
	v_sub_f32_e32 v0, v12, v0
	v_add_f32_e32 v2, v14, v2
	s_delay_alu instid0(VALU_DEP_4) | instskip(NEXT) | instid1(VALU_DEP_4)
	v_fma_f32 v15, v15, 2.0, -v3
	v_sub_f32_e32 v1, v13, v1
	s_delay_alu instid0(VALU_DEP_4) | instskip(NEXT) | instid1(VALU_DEP_4)
	v_fma_f32 v12, v12, 2.0, -v0
	v_fma_f32 v14, v14, 2.0, -v2
	s_delay_alu instid0(VALU_DEP_3) | instskip(SKIP_4) | instid1(VALU_DEP_1)
	v_fma_f32 v13, v13, 2.0, -v1
	s_wait_loadcnt 0x0
	ds_store_2addr_b64 v16, v[12:13], v[14:15] offset1:216
	scratch_load_b32 v12, off, off offset:152 th:TH_LOAD_LU ; 4-byte Folded Reload
	v_dual_sub_f32 v13, v5, v25 :: v_dual_add_nc_u32 v14, 0x1d00, v203
	v_fma_f32 v5, v5, 2.0, -v13
	s_wait_loadcnt 0x0
	ds_store_2addr_b64 v12, v[0:1], v[2:3] offset0:16 offset1:232
	v_dual_sub_f32 v3, v22, v40 :: v_dual_sub_f32 v2, v23, v41
	v_sub_f32_e32 v12, v4, v24
	s_delay_alu instid0(VALU_DEP_2) | instskip(NEXT) | instid1(VALU_DEP_3)
	v_fma_f32 v0, v22, 2.0, -v3
	v_fma_f32 v1, v23, 2.0, -v2
	s_delay_alu instid0(VALU_DEP_3) | instskip(SKIP_1) | instid1(VALU_DEP_2)
	v_fma_f32 v4, v4, 2.0, -v12
	v_dual_add_f32 v2, v12, v2 :: v_dual_sub_f32 v3, v13, v3
	v_dual_sub_f32 v1, v5, v1 :: v_dual_sub_f32 v0, v4, v0
	s_delay_alu instid0(VALU_DEP_2) | instskip(NEXT) | instid1(VALU_DEP_3)
	v_fma_f32 v12, v12, 2.0, -v2
	v_fma_f32 v13, v13, 2.0, -v3
	s_delay_alu instid0(VALU_DEP_3) | instskip(NEXT) | instid1(VALU_DEP_4)
	v_fma_f32 v5, v5, 2.0, -v1
	v_fma_f32 v4, v4, 2.0, -v0
	ds_store_2addr_b64 v14, v[4:5], v[12:13] offset0:8 offset1:224
	v_add_nc_u32_e32 v4, 0x2a00, v203
	v_dual_sub_f32 v12, v6, v28 :: v_dual_sub_f32 v13, v7, v29
	ds_store_2addr_b64 v4, v[0:1], v[2:3] offset0:24 offset1:240
	v_sub_f32_e32 v2, v27, v43
	v_fma_f32 v4, v6, 2.0, -v12
	v_sub_f32_e32 v3, v26, v42
	v_fma_f32 v5, v7, 2.0, -v13
	s_delay_alu instid0(VALU_DEP_4) | instskip(SKIP_1) | instid1(VALU_DEP_4)
	v_fma_f32 v1, v27, 2.0, -v2
	v_add_f32_e32 v2, v12, v2
	v_fma_f32 v0, v26, 2.0, -v3
	v_sub_f32_e32 v3, v13, v3
	s_delay_alu instid0(VALU_DEP_4) | instskip(NEXT) | instid1(VALU_DEP_4)
	v_sub_f32_e32 v1, v5, v1
	v_fma_f32 v6, v12, 2.0, -v2
	scratch_load_b32 v12, off, off offset:148 th:TH_LOAD_LU ; 4-byte Folded Reload
	v_sub_f32_e32 v0, v4, v0
	v_fma_f32 v7, v13, 2.0, -v3
	v_fma_f32 v5, v5, 2.0, -v1
	s_delay_alu instid0(VALU_DEP_3) | instskip(SKIP_4) | instid1(VALU_DEP_1)
	v_fma_f32 v4, v4, 2.0, -v0
	s_wait_loadcnt 0x0
	ds_store_2addr_b64 v12, v[4:5], v[6:7] offset1:216
	scratch_load_b32 v4, off, off offset:144 th:TH_LOAD_LU ; 4-byte Folded Reload
	v_dual_sub_f32 v6, v8, v32 :: v_dual_sub_f32 v7, v9, v33
	v_fma_f32 v5, v9, 2.0, -v7
	s_wait_loadcnt 0x0
	ds_store_2addr_b64 v4, v[0:1], v[2:3] offset0:16 offset1:232
	v_fma_f32 v4, v8, 2.0, -v6
	scratch_load_b32 v8, off, off offset:140 th:TH_LOAD_LU ; 4-byte Folded Reload
	v_dual_sub_f32 v3, v30, v44 :: v_dual_sub_f32 v2, v31, v45
	s_delay_alu instid0(VALU_DEP_1) | instskip(NEXT) | instid1(VALU_DEP_2)
	v_fma_f32 v0, v30, 2.0, -v3
	v_fma_f32 v1, v31, 2.0, -v2
	v_dual_add_f32 v2, v6, v2 :: v_dual_sub_f32 v3, v7, v3
	s_delay_alu instid0(VALU_DEP_2) | instskip(NEXT) | instid1(VALU_DEP_2)
	v_dual_sub_f32 v0, v4, v0 :: v_dual_sub_f32 v1, v5, v1
	v_fma_f32 v6, v6, 2.0, -v2
	s_delay_alu instid0(VALU_DEP_3) | instskip(NEXT) | instid1(VALU_DEP_3)
	v_fma_f32 v7, v7, 2.0, -v3
	v_fma_f32 v4, v4, 2.0, -v0
	s_delay_alu instid0(VALU_DEP_4)
	v_fma_f32 v5, v5, 2.0, -v1
	s_wait_loadcnt 0x0
	ds_store_2addr_b64 v8, v[4:5], v[6:7] offset1:216
	s_clause 0x1
	scratch_load_b32 v4, off, off offset:136 th:TH_LOAD_LU
	scratch_load_b32 v8, off, off offset:124 th:TH_LOAD_LU
	v_dual_sub_f32 v6, v10, v36 :: v_dual_sub_f32 v7, v11, v37
	s_delay_alu instid0(VALU_DEP_1) | instskip(SKIP_4) | instid1(VALU_DEP_2)
	v_fma_f32 v5, v11, 2.0, -v7
	s_wait_loadcnt 0x1
	ds_store_2addr_b64 v4, v[0:1], v[2:3] offset0:16 offset1:232
	v_dual_sub_f32 v3, v34, v46 :: v_dual_sub_f32 v2, v35, v47
	v_fma_f32 v4, v10, 2.0, -v6
	v_fma_f32 v0, v34, 2.0, -v3
	s_delay_alu instid0(VALU_DEP_3) | instskip(SKIP_1) | instid1(VALU_DEP_2)
	v_fma_f32 v1, v35, 2.0, -v2
	v_dual_add_f32 v2, v6, v2 :: v_dual_sub_f32 v3, v7, v3
	v_dual_sub_f32 v0, v4, v0 :: v_dual_sub_f32 v1, v5, v1
	s_delay_alu instid0(VALU_DEP_2) | instskip(NEXT) | instid1(VALU_DEP_3)
	v_fma_f32 v6, v6, 2.0, -v2
	v_fma_f32 v7, v7, 2.0, -v3
	s_delay_alu instid0(VALU_DEP_3) | instskip(NEXT) | instid1(VALU_DEP_4)
	v_fma_f32 v4, v4, 2.0, -v0
	v_fma_f32 v5, v5, 2.0, -v1
	s_wait_loadcnt 0x0
	ds_store_2addr_b64 v8, v[4:5], v[6:7] offset0:32 offset1:248
	scratch_load_b32 v4, off, off offset:120 th:TH_LOAD_LU ; 4-byte Folded Reload
	s_wait_loadcnt 0x0
	ds_store_2addr_b64 v4, v[0:1], v[2:3] offset0:16 offset1:232
	global_wb scope:SCOPE_SE
	s_wait_dscnt 0x0
	s_barrier_signal -1
	s_barrier_wait -1
	global_inv scope:SCOPE_SE
	ds_load_2addr_b64 v[0:3], v249 offset0:96 offset1:240
	ds_load_2addr_b64 v[4:7], v56 offset0:64 offset1:208
	s_wait_dscnt 0x1
	v_mul_f32_e32 v8, v93, v1
	s_wait_dscnt 0x0
	v_dual_mul_f32 v14, v89, v3 :: v_dual_mul_f32 v9, v95, v5
	v_mul_f32_e32 v12, v91, v7
	s_delay_alu instid0(VALU_DEP_3) | instskip(SKIP_1) | instid1(VALU_DEP_4)
	v_fmac_f32_e32 v8, v92, v0
	v_mul_f32_e32 v0, v93, v0
	v_dual_fmac_f32 v14, v88, v2 :: v_dual_fmac_f32 v9, v94, v4
	s_delay_alu instid0(VALU_DEP_4) | instskip(NEXT) | instid1(VALU_DEP_3)
	v_fmac_f32_e32 v12, v90, v6
	v_fma_f32 v10, v92, v1, -v0
	v_mul_f32_e32 v0, v95, v4
	s_delay_alu instid0(VALU_DEP_1) | instskip(SKIP_1) | instid1(VALU_DEP_1)
	v_fma_f32 v11, v94, v5, -v0
	v_mul_f32_e32 v0, v89, v2
	v_fma_f32 v15, v88, v3, -v0
	v_mul_f32_e32 v0, v91, v6
	s_delay_alu instid0(VALU_DEP_1)
	v_fma_f32 v13, v90, v7, -v0
	ds_load_2addr_b64 v[0:3], v57 offset1:144
	ds_load_2addr_b64 v[4:7], v156 offset0:96 offset1:240
	s_wait_dscnt 0x1
	v_mul_f32_e32 v18, v105, v1
	v_mul_f32_e32 v20, v97, v3
	s_wait_dscnt 0x0
	v_mul_f32_e32 v16, v107, v5
	v_mul_f32_e32 v22, v99, v7
	v_fmac_f32_e32 v18, v104, v0
	v_mul_f32_e32 v0, v105, v0
	v_fmac_f32_e32 v20, v96, v2
	v_fmac_f32_e32 v16, v106, v4
	;; [unrolled: 1-line block ×3, first 2 shown]
	s_delay_alu instid0(VALU_DEP_4) | instskip(SKIP_1) | instid1(VALU_DEP_1)
	v_fma_f32 v19, v104, v1, -v0
	v_mul_f32_e32 v0, v107, v4
	v_fma_f32 v17, v106, v5, -v0
	v_mul_f32_e32 v0, v97, v2
	s_delay_alu instid0(VALU_DEP_1) | instskip(SKIP_1) | instid1(VALU_DEP_1)
	v_fma_f32 v21, v96, v3, -v0
	v_mul_f32_e32 v0, v99, v6
	v_fma_f32 v23, v98, v7, -v0
	ds_load_2addr_b64 v[0:3], v159 offset0:32 offset1:176
	ds_load_2addr_b64 v[4:7], v212 offset1:144
	s_wait_dscnt 0x1
	v_mul_f32_e32 v24, v109, v1
	v_mul_f32_e32 v28, v101, v3
	s_wait_dscnt 0x0
	v_mul_f32_e32 v26, v111, v5
	v_mul_f32_e32 v30, v103, v7
	v_fmac_f32_e32 v24, v108, v0
	v_mul_f32_e32 v0, v109, v0
	v_fmac_f32_e32 v28, v100, v2
	v_fmac_f32_e32 v26, v110, v4
	;; [unrolled: 1-line block ×3, first 2 shown]
	s_delay_alu instid0(VALU_DEP_4) | instskip(SKIP_1) | instid1(VALU_DEP_1)
	v_fma_f32 v25, v108, v1, -v0
	v_mul_f32_e32 v0, v111, v4
	v_fma_f32 v27, v110, v5, -v0
	v_mul_f32_e32 v0, v101, v2
	s_delay_alu instid0(VALU_DEP_1) | instskip(SKIP_1) | instid1(VALU_DEP_1)
	v_fma_f32 v29, v100, v3, -v0
	v_mul_f32_e32 v0, v103, v6
	v_fma_f32 v31, v102, v7, -v0
	ds_load_2addr_b64 v[0:3], v209 offset0:32 offset1:176
	s_wait_dscnt 0x0
	v_mul_f32_e32 v4, v186, v1
	v_mul_f32_e32 v32, v188, v3
	s_delay_alu instid0(VALU_DEP_2) | instskip(SKIP_1) | instid1(VALU_DEP_3)
	v_fmac_f32_e32 v4, v185, v0
	v_mul_f32_e32 v0, v186, v0
	v_fmac_f32_e32 v32, v187, v2
	s_delay_alu instid0(VALU_DEP_2) | instskip(SKIP_1) | instid1(VALU_DEP_3)
	v_fma_f32 v5, v185, v1, -v0
	v_mul_f32_e32 v0, v188, v2
	v_sub_f32_e32 v32, v14, v32
	s_delay_alu instid0(VALU_DEP_2)
	v_fma_f32 v33, v187, v3, -v0
	ds_load_2addr_b64 v[0:3], v213 offset0:64 offset1:208
	v_sub_f32_e32 v33, v15, v33
	s_wait_dscnt 0x0
	v_mul_f32_e32 v34, v192, v1
	v_mul_f32_e32 v36, v196, v3
	s_delay_alu instid0(VALU_DEP_2) | instskip(SKIP_1) | instid1(VALU_DEP_3)
	v_fmac_f32_e32 v34, v191, v0
	v_mul_f32_e32 v0, v192, v0
	v_fmac_f32_e32 v36, v195, v2
	s_delay_alu instid0(VALU_DEP_3) | instskip(NEXT) | instid1(VALU_DEP_3)
	v_sub_f32_e32 v34, v18, v34
	v_fma_f32 v35, v191, v1, -v0
	v_mul_f32_e32 v0, v196, v2
	s_delay_alu instid0(VALU_DEP_2) | instskip(NEXT) | instid1(VALU_DEP_2)
	v_dual_sub_f32 v36, v20, v36 :: v_dual_sub_f32 v35, v19, v35
	v_fma_f32 v37, v195, v3, -v0
	ds_load_2addr_b64 v[0:3], v241 offset0:96 offset1:240
	v_sub_f32_e32 v37, v21, v37
	s_wait_dscnt 0x0
	v_mul_f32_e32 v38, v198, v1
	v_mul_f32_e32 v40, v200, v3
	s_delay_alu instid0(VALU_DEP_2) | instskip(SKIP_1) | instid1(VALU_DEP_3)
	v_fmac_f32_e32 v38, v197, v0
	v_mul_f32_e32 v0, v198, v0
	v_fmac_f32_e32 v40, v199, v2
	s_delay_alu instid0(VALU_DEP_3) | instskip(NEXT) | instid1(VALU_DEP_3)
	v_sub_f32_e32 v38, v24, v38
	v_fma_f32 v39, v197, v1, -v0
	s_delay_alu instid0(VALU_DEP_1) | instskip(NEXT) | instid1(VALU_DEP_1)
	v_dual_mul_f32 v0, v200, v2 :: v_dual_sub_f32 v39, v25, v39
	v_fma_f32 v41, v199, v3, -v0
	ds_load_2addr_b64 v[0:3], v203 offset1:144
	s_wait_dscnt 0x0
	v_dual_sub_f32 v6, v0, v9 :: v_dual_sub_f32 v7, v1, v11
	v_dual_sub_f32 v42, v2, v12 :: v_dual_sub_f32 v43, v3, v13
	s_delay_alu instid0(VALU_DEP_2) | instskip(NEXT) | instid1(VALU_DEP_3)
	v_fma_f32 v44, v0, 2.0, -v6
	v_fma_f32 v45, v1, 2.0, -v7
	v_dual_sub_f32 v0, v8, v4 :: v_dual_sub_f32 v1, v10, v5
	s_delay_alu instid0(VALU_DEP_4) | instskip(SKIP_1) | instid1(VALU_DEP_3)
	v_fma_f32 v46, v2, 2.0, -v42
	v_fma_f32 v47, v3, 2.0, -v43
	;; [unrolled: 1-line block ×3, first 2 shown]
	s_delay_alu instid0(VALU_DEP_4) | instskip(SKIP_1) | instid1(VALU_DEP_3)
	v_dual_sub_f32 v9, v7, v0 :: v_dual_add_f32 v8, v6, v1
	v_fma_f32 v0, v10, 2.0, -v1
	v_sub_f32_e32 v12, v44, v2
	s_delay_alu instid0(VALU_DEP_3) | instskip(NEXT) | instid1(VALU_DEP_4)
	v_fma_f32 v11, v7, 2.0, -v9
	v_fma_f32 v10, v6, 2.0, -v8
	s_delay_alu instid0(VALU_DEP_4)
	v_sub_f32_e32 v13, v45, v0
	ds_load_2addr_b64 v[0:3], v229 offset0:32 offset1:176
	ds_load_2addr_b64 v[4:7], v162 offset0:64 offset1:208
	ds_store_b64 v203, v[10:11] offset:6912
	ds_store_b64 v203, v[12:13] offset:13824
	;; [unrolled: 1-line block ×3, first 2 shown]
	v_fma_f32 v8, v14, 2.0, -v32
	v_fma_f32 v9, v15, 2.0, -v33
	;; [unrolled: 1-line block ×4, first 2 shown]
	s_delay_alu instid0(VALU_DEP_3) | instskip(NEXT) | instid1(VALU_DEP_1)
	v_dual_sub_f32 v8, v46, v8 :: v_dual_sub_f32 v9, v47, v9
	v_fma_f32 v12, v46, 2.0, -v8
	s_delay_alu instid0(VALU_DEP_2)
	v_fma_f32 v13, v47, 2.0, -v9
	s_wait_dscnt 0x4
	v_dual_sub_f32 v22, v2, v22 :: v_dual_sub_f32 v23, v3, v23
	ds_store_2addr_b64 v203, v[10:11], v[12:13] offset1:144
	v_dual_add_f32 v10, v42, v33 :: v_dual_sub_f32 v11, v43, v32
	v_dual_sub_f32 v32, v0, v16 :: v_dual_sub_f32 v33, v1, v17
	ds_store_b64 v203, v[8:9] offset:14976
	v_fma_f32 v8, v42, 2.0, -v10
	ds_store_b64 v203, v[10:11] offset:21888
	v_fma_f32 v9, v43, 2.0, -v11
	v_dual_add_f32 v10, v32, v35 :: v_dual_sub_f32 v11, v33, v34
	s_wait_dscnt 0x6
	v_dual_sub_f32 v26, v4, v26 :: v_dual_sub_f32 v27, v5, v27
	v_add_nc_u32_e32 v42, 0x2800, v203
	s_delay_alu instid0(VALU_DEP_3) | instskip(SKIP_1) | instid1(VALU_DEP_4)
	v_fma_f32 v12, v32, 2.0, -v10
	v_fma_f32 v13, v33, 2.0, -v11
	;; [unrolled: 1-line block ×4, first 2 shown]
	ds_store_2addr_b64 v208, v[8:9], v[12:13] offset0:48 offset1:192
	v_dual_add_f32 v8, v22, v37 :: v_dual_sub_f32 v9, v23, v36
	v_dual_add_f32 v12, v26, v39 :: v_dual_sub_f32 v13, v27, v38
	s_delay_alu instid0(VALU_DEP_2) | instskip(NEXT) | instid1(VALU_DEP_3)
	v_fma_f32 v14, v22, 2.0, -v8
	v_fma_f32 v15, v23, 2.0, -v9
	s_delay_alu instid0(VALU_DEP_3) | instskip(NEXT) | instid1(VALU_DEP_4)
	v_fma_f32 v16, v26, 2.0, -v12
	v_fma_f32 v17, v27, 2.0, -v13
	ds_store_2addr_b64 v42, v[14:15], v[16:17] offset0:16 offset1:160
	v_fma_f32 v14, v0, 2.0, -v32
	v_fma_f32 v15, v1, 2.0, -v33
	;; [unrolled: 1-line block ×8, first 2 shown]
	s_delay_alu instid0(VALU_DEP_3) | instskip(NEXT) | instid1(VALU_DEP_2)
	v_dual_sub_f32 v0, v14, v0 :: v_dual_sub_f32 v1, v15, v1
	v_dual_sub_f32 v2, v16, v2 :: v_dual_sub_f32 v3, v17, v3
	s_delay_alu instid0(VALU_DEP_2) | instskip(NEXT) | instid1(VALU_DEP_3)
	v_fma_f32 v14, v14, 2.0, -v0
	v_fma_f32 v15, v15, 2.0, -v1
	s_delay_alu instid0(VALU_DEP_3) | instskip(NEXT) | instid1(VALU_DEP_4)
	v_fma_f32 v16, v16, 2.0, -v2
	v_fma_f32 v17, v17, 2.0, -v3
	ds_store_2addr_b64 v229, v[14:15], v[16:17] offset0:32 offset1:176
	ds_store_2addr_b64 v156, v[0:1], v[2:3] offset0:96 offset1:240
	;; [unrolled: 1-line block ×3, first 2 shown]
	v_dual_sub_f32 v8, v6, v30 :: v_dual_sub_f32 v9, v7, v31
	v_dual_sub_f32 v10, v28, v40 :: v_dual_sub_f32 v11, v29, v41
	v_fma_f32 v0, v24, 2.0, -v38
	s_delay_alu instid0(VALU_DEP_3) | instskip(NEXT) | instid1(VALU_DEP_4)
	v_fma_f32 v6, v6, 2.0, -v8
	v_fma_f32 v7, v7, 2.0, -v9
	;; [unrolled: 1-line block ×5, first 2 shown]
	s_delay_alu instid0(VALU_DEP_3) | instskip(NEXT) | instid1(VALU_DEP_2)
	v_dual_sub_f32 v0, v4, v0 :: v_dual_sub_f32 v1, v5, v1
	v_dual_sub_f32 v2, v6, v2 :: v_dual_sub_f32 v3, v7, v3
	s_delay_alu instid0(VALU_DEP_2) | instskip(NEXT) | instid1(VALU_DEP_3)
	v_fma_f32 v4, v4, 2.0, -v0
	v_fma_f32 v5, v5, 2.0, -v1
	s_delay_alu instid0(VALU_DEP_3) | instskip(NEXT) | instid1(VALU_DEP_4)
	v_fma_f32 v6, v6, 2.0, -v2
	v_fma_f32 v7, v7, 2.0, -v3
	ds_store_2addr_b64 v162, v[4:5], v[6:7] offset0:64 offset1:208
	ds_store_2addr_b64 v212, v[0:1], v[2:3] offset1:144
	v_dual_add_f32 v0, v8, v11 :: v_dual_sub_f32 v1, v9, v10
	ds_store_2addr_b64 v241, v[12:13], v[0:1] offset0:96 offset1:240
	v_fma_f32 v0, v8, 2.0, -v0
	v_fma_f32 v1, v9, 2.0, -v1
	ds_store_b64 v203, v[0:1] offset:12672
	global_wb scope:SCOPE_SE
	s_wait_dscnt 0x0
	s_barrier_signal -1
	s_barrier_wait -1
	global_inv scope:SCOPE_SE
	scratch_load_b64 v[5:6], off, off offset:52 th:TH_LOAD_LU ; 8-byte Folded Reload
	ds_load_2addr_b64 v[1:4], v203 offset1:144
	scratch_load_b64 v[18:19], off, off offset:20 th:TH_LOAD_LU ; 8-byte Folded Reload
	ds_load_2addr_b64 v[9:12], v162 offset0:64 offset1:208
	scratch_load_b32 v20, off, off th:TH_LOAD_LU ; 4-byte Folded Reload
	s_wait_loadcnt_dscnt 0x201
	v_mul_f32_e32 v0, v6, v2
	s_delay_alu instid0(VALU_DEP_1) | instskip(SKIP_1) | instid1(VALU_DEP_1)
	v_fmac_f32_e32 v0, v5, v1
	v_mul_f32_e32 v1, v6, v1
	v_fma_f32 v1, v5, v2, -v1
	scratch_load_b64 v[5:6], off, off offset:36 th:TH_LOAD_LU ; 8-byte Folded Reload
	s_wait_loadcnt 0x0
	v_mul_f32_e32 v2, v6, v4
	s_delay_alu instid0(VALU_DEP_1) | instskip(SKIP_1) | instid1(VALU_DEP_1)
	v_fmac_f32_e32 v2, v5, v3
	v_mul_f32_e32 v3, v6, v3
	v_fma_f32 v7, v5, v4, -v3
	scratch_load_b64 v[4:5], off, off offset:28 th:TH_LOAD_LU ; 8-byte Folded Reload
	s_wait_loadcnt_dscnt 0x0
	v_mul_f32_e32 v8, v5, v10
	v_mul_f32_e32 v3, v5, v9
	s_delay_alu instid0(VALU_DEP_2) | instskip(NEXT) | instid1(VALU_DEP_2)
	v_dual_mul_f32 v5, v215, v12 :: v_dual_fmac_f32 v8, v4, v9
	v_fma_f32 v9, v4, v10, -v3
	v_mul_f32_e32 v3, v215, v11
	s_delay_alu instid0(VALU_DEP_3) | instskip(NEXT) | instid1(VALU_DEP_2)
	v_fmac_f32_e32 v5, v214, v11
	v_fma_f32 v6, v214, v12, -v3
	ds_load_2addr_b64 v[11:14], v57 offset1:144
	s_wait_dscnt 0x0
	v_mul_f32_e32 v10, v211, v12
	v_mul_f32_e32 v3, v211, v11
	;; [unrolled: 1-line block ×3, first 2 shown]
	s_delay_alu instid0(VALU_DEP_3) | instskip(NEXT) | instid1(VALU_DEP_3)
	v_fmac_f32_e32 v10, v210, v11
	v_fma_f32 v11, v210, v12, -v3
	v_mul_f32_e32 v3, v207, v14
	s_delay_alu instid0(VALU_DEP_4) | instskip(NEXT) | instid1(VALU_DEP_2)
	v_fma_f32 v4, v206, v14, -v4
	v_fmac_f32_e32 v3, v206, v13
	ds_load_2addr_b64 v[13:16], v56 offset0:64 offset1:208
	s_wait_dscnt 0x0
	v_mul_f32_e32 v12, v205, v14
	v_mul_f32_e32 v22, v222, v16
	s_delay_alu instid0(VALU_DEP_2) | instskip(SKIP_1) | instid1(VALU_DEP_3)
	v_fmac_f32_e32 v12, v204, v13
	v_mul_f32_e32 v13, v205, v13
	v_fmac_f32_e32 v22, v221, v15
	s_delay_alu instid0(VALU_DEP_2) | instskip(SKIP_1) | instid1(VALU_DEP_1)
	v_fma_f32 v13, v204, v14, -v13
	v_mul_f32_e32 v14, v222, v15
	v_fma_f32 v23, v221, v16, -v14
	ds_load_2addr_b64 v[14:17], v212 offset1:144
	s_wait_dscnt 0x0
	v_mul_f32_e32 v21, v19, v15
	v_mul_f32_e32 v25, v228, v17
	s_delay_alu instid0(VALU_DEP_2) | instskip(SKIP_1) | instid1(VALU_DEP_3)
	v_fmac_f32_e32 v21, v18, v14
	v_mul_f32_e32 v14, v19, v14
	v_fmac_f32_e32 v25, v227, v16
	s_delay_alu instid0(VALU_DEP_2) | instskip(SKIP_2) | instid1(VALU_DEP_1)
	v_fma_f32 v24, v18, v15, -v14
	scratch_load_b64 v[18:19], off, off offset:128 th:TH_LOAD_LU ; 8-byte Folded Reload
	v_mul_f32_e32 v14, v228, v16
	v_fma_f32 v26, v227, v17, -v14
	ds_load_2addr_b64 v[14:17], v213 offset0:64 offset1:208
	s_wait_dscnt 0x0
	v_mul_f32_e32 v27, v224, v15
	v_mul_f32_e32 v29, v226, v17
	s_delay_alu instid0(VALU_DEP_2) | instskip(NEXT) | instid1(VALU_DEP_2)
	v_fmac_f32_e32 v27, v223, v14
	v_dual_mul_f32 v14, v224, v14 :: v_dual_fmac_f32 v29, v225, v16
	s_delay_alu instid0(VALU_DEP_1) | instskip(SKIP_1) | instid1(VALU_DEP_1)
	v_fma_f32 v28, v223, v15, -v14
	v_mul_f32_e32 v14, v226, v16
	v_fma_f32 v30, v225, v17, -v14
	ds_load_2addr_b64 v[14:17], v229 offset0:32 offset1:176
	s_wait_dscnt 0x0
	v_mul_f32_e32 v31, v231, v15
	s_delay_alu instid0(VALU_DEP_1) | instskip(SKIP_1) | instid1(VALU_DEP_1)
	v_fmac_f32_e32 v31, v230, v14
	v_mul_f32_e32 v14, v231, v14
	v_fma_f32 v32, v230, v15, -v14
	s_wait_loadcnt 0x0
	v_mul_f32_e32 v33, v19, v17
	v_mul_f32_e32 v14, v19, v16
	s_delay_alu instid0(VALU_DEP_2) | instskip(NEXT) | instid1(VALU_DEP_2)
	v_fmac_f32_e32 v33, v18, v16
	v_fma_f32 v34, v18, v17, -v14
	ds_load_2addr_b64 v[14:17], v249 offset0:96 offset1:240
	s_wait_dscnt 0x0
	v_mul_f32_e32 v35, v233, v15
	v_mul_f32_e32 v37, v240, v17
	s_delay_alu instid0(VALU_DEP_2) | instskip(NEXT) | instid1(VALU_DEP_2)
	v_fmac_f32_e32 v35, v232, v14
	v_dual_mul_f32 v14, v233, v14 :: v_dual_fmac_f32 v37, v239, v16
	s_delay_alu instid0(VALU_DEP_1) | instskip(SKIP_1) | instid1(VALU_DEP_1)
	v_fma_f32 v36, v232, v15, -v14
	v_mul_f32_e32 v14, v240, v16
	v_fma_f32 v38, v239, v17, -v14
	ds_load_2addr_b64 v[14:17], v159 offset0:32 offset1:176
	s_wait_dscnt 0x0
	v_mul_f32_e32 v39, v235, v15
	v_mul_f32_e32 v41, v243, v17
	s_delay_alu instid0(VALU_DEP_2) | instskip(NEXT) | instid1(VALU_DEP_2)
	v_fmac_f32_e32 v39, v234, v14
	v_dual_mul_f32 v14, v235, v14 :: v_dual_fmac_f32 v41, v242, v16
	s_delay_alu instid0(VALU_DEP_1) | instskip(SKIP_1) | instid1(VALU_DEP_1)
	v_fma_f32 v40, v234, v15, -v14
	v_mul_f32_e32 v14, v243, v16
	v_fma_f32 v42, v242, v17, -v14
	ds_load_2addr_b64 v[14:17], v156 offset0:96 offset1:240
	s_wait_dscnt 0x0
	v_mul_f32_e32 v43, v237, v15
	s_delay_alu instid0(VALU_DEP_1) | instskip(SKIP_1) | instid1(VALU_DEP_1)
	v_fmac_f32_e32 v43, v236, v14
	v_mul_f32_e32 v14, v237, v14
	v_fma_f32 v44, v236, v15, -v14
	scratch_load_b64 v[14:15], off, off offset:68 th:TH_LOAD_LU ; 8-byte Folded Reload
	s_wait_loadcnt 0x0
	v_mul_f32_e32 v45, v15, v17
	v_dual_mov_b32 v19, v15 :: v_dual_mov_b32 v18, v14
	s_delay_alu instid0(VALU_DEP_2) | instskip(NEXT) | instid1(VALU_DEP_2)
	v_fmac_f32_e32 v45, v14, v16
	v_mul_f32_e32 v14, v19, v16
	s_delay_alu instid0(VALU_DEP_1) | instskip(SKIP_4) | instid1(VALU_DEP_1)
	v_fma_f32 v46, v18, v17, -v14
	scratch_load_b64 v[18:19], off, off offset:44 th:TH_LOAD_LU ; 8-byte Folded Reload
	ds_load_2addr_b64 v[14:17], v209 offset0:32 offset1:176
	s_wait_loadcnt_dscnt 0x0
	v_mul_f32_e32 v47, v19, v15
	v_fmac_f32_e32 v47, v18, v14
	v_mul_f32_e32 v14, v19, v14
	s_delay_alu instid0(VALU_DEP_1) | instskip(SKIP_4) | instid1(VALU_DEP_2)
	v_fma_f32 v48, v18, v15, -v14
	scratch_load_b64 v[18:19], off, off offset:4 th:TH_LOAD_LU ; 8-byte Folded Reload
	s_wait_loadcnt 0x0
	v_mul_f32_e32 v49, v19, v17
	v_mul_f32_e32 v14, v19, v16
	v_fmac_f32_e32 v49, v18, v16
	s_delay_alu instid0(VALU_DEP_2) | instskip(SKIP_4) | instid1(VALU_DEP_1)
	v_fma_f32 v50, v18, v17, -v14
	scratch_load_b64 v[18:19], off, off offset:60 th:TH_LOAD_LU ; 8-byte Folded Reload
	ds_load_2addr_b64 v[14:17], v241 offset0:96 offset1:240
	s_wait_loadcnt_dscnt 0x0
	v_mul_f32_e32 v51, v19, v15
	v_fmac_f32_e32 v51, v18, v14
	v_mul_f32_e32 v14, v19, v14
	s_delay_alu instid0(VALU_DEP_1) | instskip(SKIP_4) | instid1(VALU_DEP_2)
	v_fma_f32 v52, v18, v15, -v14
	scratch_load_b64 v[18:19], off, off offset:84 th:TH_LOAD_LU ; 8-byte Folded Reload
	s_wait_loadcnt 0x0
	v_mul_f32_e32 v53, v19, v17
	v_mul_f32_e32 v14, v19, v16
	v_fmac_f32_e32 v53, v18, v16
	s_delay_alu instid0(VALU_DEP_2)
	v_fma_f32 v54, v18, v17, -v14
	s_clause 0x1
	scratch_load_b64 v[16:17], off, off offset:12 th:TH_LOAD_LU
	scratch_load_b32 v18, off, off offset:76 th:TH_LOAD_LU
	s_wait_loadcnt 0x1
	v_mad_co_u64_u32 v[14:15], null, s6, v16, 0
	s_delay_alu instid0(VALU_DEP_1) | instskip(SKIP_4) | instid1(VALU_DEP_2)
	v_mad_co_u64_u32 v[15:16], null, s7, v16, v[15:16]
	s_wait_loadcnt 0x0
	v_mad_co_u64_u32 v[16:17], null, s4, v18, 0
	s_mov_b32 s6, 0xbda12f68
	s_mov_b32 s7, 0x3f32f684
	v_lshlrev_b64_e32 v[14:15], 3, v[14:15]
	s_delay_alu instid0(VALU_DEP_2) | instskip(SKIP_1) | instid1(VALU_DEP_1)
	v_mad_co_u64_u32 v[17:18], null, s5, v18, v[17:18]
	v_mad_co_u64_u32 v[18:19], null, s4, v20, 0
	;; [unrolled: 1-line block ×3, first 2 shown]
	s_delay_alu instid0(VALU_DEP_4) | instskip(SKIP_4) | instid1(VALU_DEP_4)
	v_add_co_u32 v20, vcc_lo, s0, v14
	s_wait_alu 0xfffd
	v_add_co_ci_u32_e32 v55, vcc_lo, s1, v15, vcc_lo
	v_lshlrev_b64_e32 v[14:15], 3, v[16:17]
	s_mul_u64 s[0:1], s[4:5], 0x1200
	v_lshlrev_b64_e32 v[16:17], 3, v[18:19]
	v_cvt_f64_f32_e32 v[18:19], v0
	v_cvt_f64_f32_e32 v[0:1], v1
	s_delay_alu instid0(VALU_DEP_4)
	v_add_co_u32 v14, vcc_lo, v20, v14
	s_wait_alu 0xfffd
	v_add_co_ci_u32_e32 v15, vcc_lo, v55, v15, vcc_lo
	v_add_co_u32 v16, vcc_lo, v20, v16
	s_wait_alu 0xfffd
	v_add_co_ci_u32_e32 v17, vcc_lo, v55, v17, vcc_lo
	s_wait_alu 0xfffe
	v_mul_f64_e32 v[18:19], s[6:7], v[18:19]
	v_mul_f64_e32 v[0:1], s[6:7], v[0:1]
	s_delay_alu instid0(VALU_DEP_2) | instskip(NEXT) | instid1(VALU_DEP_2)
	v_cvt_f32_f64_e32 v18, v[18:19]
	v_cvt_f32_f64_e32 v19, v[0:1]
	v_cvt_f64_f32_e32 v[0:1], v8
	v_cvt_f64_f32_e32 v[8:9], v9
	global_store_b64 v[14:15], v[18:19], off
	v_mul_f64_e32 v[0:1], s[6:7], v[0:1]
	v_mul_f64_e32 v[8:9], s[6:7], v[8:9]
	v_add_co_u32 v14, vcc_lo, v14, s0
	s_wait_alu 0xfffd
	v_add_co_ci_u32_e32 v15, vcc_lo, s1, v15, vcc_lo
	s_delay_alu instid0(VALU_DEP_4) | instskip(NEXT) | instid1(VALU_DEP_4)
	v_cvt_f32_f64_e32 v0, v[0:1]
	v_cvt_f32_f64_e32 v1, v[8:9]
	v_cvt_f64_f32_e32 v[8:9], v10
	v_cvt_f64_f32_e32 v[10:11], v11
	global_store_b64 v[14:15], v[0:1], off
	v_mul_f64_e32 v[8:9], s[6:7], v[8:9]
	v_mul_f64_e32 v[10:11], s[6:7], v[10:11]
	v_add_co_u32 v0, vcc_lo, v14, s0
	s_wait_alu 0xfffd
	v_add_co_ci_u32_e32 v1, vcc_lo, s1, v15, vcc_lo
	v_cvt_f64_f32_e32 v[14:15], v7
	v_cvt_f32_f64_e32 v8, v[8:9]
	v_cvt_f32_f64_e32 v9, v[10:11]
	v_cvt_f64_f32_e32 v[10:11], v12
	v_cvt_f64_f32_e32 v[12:13], v13
	global_store_b64 v[0:1], v[8:9], off
	v_mul_f64_e32 v[10:11], s[6:7], v[10:11]
	v_mul_f64_e32 v[12:13], s[6:7], v[12:13]
	v_add_co_u32 v0, vcc_lo, v0, s0
	s_wait_alu 0xfffd
	v_add_co_ci_u32_e32 v1, vcc_lo, s1, v1, vcc_lo
	v_cvt_f64_f32_e32 v[8:9], v27
	v_cvt_f32_f64_e32 v10, v[10:11]
	v_cvt_f32_f64_e32 v11, v[12:13]
	v_cvt_f64_f32_e32 v[12:13], v21
	v_cvt_f64_f32_e32 v[20:21], v24
	v_mul_f64_e32 v[8:9], s[6:7], v[8:9]
	s_delay_alu instid0(VALU_DEP_3) | instskip(NEXT) | instid1(VALU_DEP_3)
	v_mul_f64_e32 v[12:13], s[6:7], v[12:13]
	v_mul_f64_e32 v[20:21], s[6:7], v[20:21]
	s_delay_alu instid0(VALU_DEP_3) | instskip(NEXT) | instid1(VALU_DEP_3)
	v_cvt_f32_f64_e32 v7, v[8:9]
	v_cvt_f32_f64_e32 v12, v[12:13]
	s_delay_alu instid0(VALU_DEP_3)
	v_cvt_f32_f64_e32 v13, v[20:21]
	s_clause 0x1
	global_store_b64 v[0:1], v[10:11], off
	global_store_b64 v[16:17], v[12:13], off
	v_cvt_f64_f32_e32 v[10:11], v28
	v_cvt_f64_f32_e32 v[12:13], v2
	v_mad_co_u64_u32 v[0:1], null, 0x2400, s4, v[0:1]
	v_cvt_f64_f32_e32 v[17:18], v26
	v_cvt_f64_f32_e32 v[19:20], v30
	;; [unrolled: 1-line block ×3, first 2 shown]
	s_delay_alu instid0(VALU_DEP_4)
	v_mad_co_u64_u32 v[1:2], null, 0x2400, s5, v[1:2]
	v_cvt_f64_f32_e32 v[2:3], v3
	v_mul_f64_e32 v[10:11], s[6:7], v[10:11]
	v_mul_f64_e32 v[17:18], s[6:7], v[17:18]
	;; [unrolled: 1-line block ×5, first 2 shown]
	v_cvt_f32_f64_e32 v8, v[10:11]
	v_mul_f64_e32 v[9:10], s[6:7], v[12:13]
	v_mul_f64_e32 v[11:12], s[6:7], v[14:15]
	v_cvt_f64_f32_e32 v[13:14], v5
	v_cvt_f64_f32_e32 v[5:6], v6
	;; [unrolled: 1-line block ×4, first 2 shown]
	v_cvt_f32_f64_e32 v2, v[2:3]
	global_store_b64 v[0:1], v[7:8], off
	v_cvt_f64_f32_e32 v[7:8], v4
	v_cvt_f32_f64_e32 v9, v[9:10]
	v_cvt_f32_f64_e32 v10, v[11:12]
	v_cvt_f64_f32_e32 v[11:12], v22
	v_mul_f64_e32 v[13:14], s[6:7], v[13:14]
	v_mul_f64_e32 v[4:5], s[6:7], v[5:6]
	v_mul_f64_e32 v[15:16], s[6:7], v[15:16]
	v_cvt_f64_f32_e32 v[21:22], v32
	v_add_co_u32 v0, vcc_lo, v0, s2
	s_wait_alu 0xfffd
	v_add_co_ci_u32_e32 v1, vcc_lo, s3, v1, vcc_lo
	v_mul_f64_e32 v[23:24], s[6:7], v[23:24]
	v_mul_f64_e32 v[6:7], s[6:7], v[7:8]
	global_store_b64 v[0:1], v[9:10], off
	v_mul_f64_e32 v[11:12], s[6:7], v[11:12]
	v_cvt_f32_f64_e32 v13, v[13:14]
	v_cvt_f32_f64_e32 v14, v[4:5]
	v_cvt_f64_f32_e32 v[4:5], v25
	v_mul_f64_e32 v[21:22], s[6:7], v[21:22]
	v_cvt_f64_f32_e32 v[8:9], v40
	v_cvt_f64_f32_e32 v[25:26], v52
	v_cvt_f32_f64_e32 v3, v[6:7]
	v_cvt_f64_f32_e32 v[6:7], v29
	v_cvt_f64_f32_e32 v[29:30], v34
	v_cvt_f32_f64_e32 v11, v[11:12]
	v_cvt_f32_f64_e32 v12, v[15:16]
	v_cvt_f64_f32_e32 v[15:16], v31
	v_mul_f64_e32 v[4:5], s[6:7], v[4:5]
	v_cvt_f64_f32_e32 v[33:34], v37
	v_mul_f64_e32 v[8:9], s[6:7], v[8:9]
	v_mul_f64_e32 v[25:26], s[6:7], v[25:26]
	;; [unrolled: 1-line block ×5, first 2 shown]
	v_cvt_f32_f64_e32 v4, v[4:5]
	v_cvt_f32_f64_e32 v5, v[17:18]
	v_cvt_f64_f32_e32 v[17:18], v35
	v_cvt_f64_f32_e32 v[35:36], v38
	;; [unrolled: 1-line block ×3, first 2 shown]
	v_mul_f64_e32 v[33:34], s[6:7], v[33:34]
	v_cvt_f32_f64_e32 v6, v[6:7]
	v_cvt_f32_f64_e32 v7, v[19:20]
	v_add_co_u32 v19, vcc_lo, v0, s0
	s_wait_alu 0xfffd
	v_add_co_ci_u32_e32 v20, vcc_lo, s1, v1, vcc_lo
	v_cvt_f32_f64_e32 v15, v[15:16]
	v_cvt_f32_f64_e32 v16, v[21:22]
	v_add_co_u32 v21, vcc_lo, v19, s0
	v_mul_f64_e32 v[17:18], s[6:7], v[17:18]
	s_wait_alu 0xfffd
	v_add_co_ci_u32_e32 v22, vcc_lo, s1, v20, vcc_lo
	s_delay_alu instid0(VALU_DEP_3)
	v_add_co_u32 v0, vcc_lo, v21, s0
	global_store_b64 v[19:20], v[13:14], off
	global_store_b64 v[21:22], v[2:3], off
	s_wait_alu 0xfffd
	v_add_co_ci_u32_e32 v1, vcc_lo, s1, v22, vcc_lo
	v_cvt_f64_f32_e32 v[2:3], v39
	v_cvt_f64_f32_e32 v[19:20], v48
	;; [unrolled: 1-line block ×3, first 2 shown]
	global_store_b64 v[0:1], v[11:12], off
	v_add_co_u32 v0, vcc_lo, v0, s0
	s_wait_alu 0xfffd
	v_add_co_ci_u32_e32 v1, vcc_lo, s1, v1, vcc_lo
	v_cvt_f64_f32_e32 v[10:11], v43
	s_delay_alu instid0(VALU_DEP_3) | instskip(SKIP_1) | instid1(VALU_DEP_3)
	v_add_co_u32 v12, vcc_lo, v0, s0
	s_wait_alu 0xfffd
	v_add_co_ci_u32_e32 v13, vcc_lo, s1, v1, vcc_lo
	global_store_b64 v[0:1], v[4:5], off
	v_cvt_f64_f32_e32 v[0:1], v44
	v_cvt_f64_f32_e32 v[4:5], v47
	v_add_co_u32 v31, vcc_lo, v12, s2
	s_wait_alu 0xfffd
	v_add_co_ci_u32_e32 v32, vcc_lo, s3, v13, vcc_lo
	global_store_b64 v[12:13], v[6:7], off
	global_store_b64 v[31:32], v[15:16], off
	v_cvt_f64_f32_e32 v[12:13], v41
	v_cvt_f64_f32_e32 v[14:15], v42
	v_add_co_u32 v16, vcc_lo, v31, s0
	v_cvt_f32_f64_e32 v6, v[17:18]
	v_cvt_f32_f64_e32 v7, v[23:24]
	s_wait_alu 0xfffd
	v_add_co_ci_u32_e32 v17, vcc_lo, s1, v32, vcc_lo
	v_cvt_f64_f32_e32 v[23:24], v45
	v_cvt_f64_f32_e32 v[31:32], v46
	;; [unrolled: 1-line block ×5, first 2 shown]
	v_mul_f64_e32 v[2:3], s[6:7], v[2:3]
	v_mul_f64_e32 v[18:19], s[6:7], v[19:20]
	;; [unrolled: 1-line block ×10, first 2 shown]
	global_store_b64 v[16:17], v[6:7], off
	v_mul_f64_e32 v[22:23], s[6:7], v[23:24]
	v_mul_f64_e32 v[31:32], s[6:7], v[31:32]
	;; [unrolled: 1-line block ×5, first 2 shown]
	v_cvt_f32_f64_e32 v2, v[2:3]
	v_cvt_f32_f64_e32 v3, v[8:9]
	v_cvt_f32_f64_e32 v8, v[10:11]
	v_cvt_f32_f64_e32 v10, v[27:28]
	v_cvt_f32_f64_e32 v11, v[29:30]
	v_cvt_f32_f64_e32 v9, v[0:1]
	v_cvt_f32_f64_e32 v0, v[4:5]
	v_cvt_f32_f64_e32 v1, v[18:19]
	v_add_co_u32 v18, vcc_lo, v16, s0
	v_cvt_f32_f64_e32 v4, v[20:21]
	v_cvt_f32_f64_e32 v5, v[25:26]
	s_wait_alu 0xfffd
	v_add_co_ci_u32_e32 v19, vcc_lo, s1, v17, vcc_lo
	v_add_co_u32 v24, vcc_lo, v18, s0
	v_cvt_f32_f64_e32 v20, v[33:34]
	s_wait_alu 0xfffd
	s_delay_alu instid0(VALU_DEP_3)
	v_add_co_ci_u32_e32 v25, vcc_lo, s1, v19, vcc_lo
	v_cvt_f32_f64_e32 v21, v[35:36]
	v_cvt_f32_f64_e32 v12, v[12:13]
	;; [unrolled: 1-line block ×3, first 2 shown]
	v_add_co_u32 v14, vcc_lo, v24, s0
	s_wait_alu 0xfffd
	v_add_co_ci_u32_e32 v15, vcc_lo, s1, v25, vcc_lo
	v_cvt_f32_f64_e32 v22, v[22:23]
	v_cvt_f32_f64_e32 v23, v[31:32]
	;; [unrolled: 1-line block ×6, first 2 shown]
	v_add_co_u32 v30, vcc_lo, v14, s0
	s_wait_alu 0xfffd
	v_add_co_ci_u32_e32 v31, vcc_lo, s1, v15, vcc_lo
	global_store_b64 v[18:19], v[2:3], off
	v_add_co_u32 v6, vcc_lo, v30, s2
	s_wait_alu 0xfffd
	v_add_co_ci_u32_e32 v7, vcc_lo, s3, v31, vcc_lo
	s_delay_alu instid0(VALU_DEP_2) | instskip(SKIP_1) | instid1(VALU_DEP_2)
	v_add_co_u32 v2, vcc_lo, v6, s0
	s_wait_alu 0xfffd
	v_add_co_ci_u32_e32 v3, vcc_lo, s1, v7, vcc_lo
	global_store_b64 v[24:25], v[8:9], off
	v_add_co_u32 v8, vcc_lo, v2, s0
	s_wait_alu 0xfffd
	v_add_co_ci_u32_e32 v9, vcc_lo, s1, v3, vcc_lo
	global_store_b64 v[14:15], v[0:1], off
	;; [unrolled: 4-line block ×5, first 2 shown]
	global_store_b64 v[8:9], v[12:13], off
	global_store_b64 v[0:1], v[22:23], off
	;; [unrolled: 1-line block ×4, first 2 shown]
.LBB0_2:
	s_nop 0
	s_sendmsg sendmsg(MSG_DEALLOC_VGPRS)
	s_endpgm
	.section	.rodata,"a",@progbits
	.p2align	6, 0x0
	.amdhsa_kernel bluestein_single_back_len3456_dim1_sp_op_CI_CI
		.amdhsa_group_segment_fixed_size 27648
		.amdhsa_private_segment_fixed_size 164
		.amdhsa_kernarg_size 104
		.amdhsa_user_sgpr_count 2
		.amdhsa_user_sgpr_dispatch_ptr 0
		.amdhsa_user_sgpr_queue_ptr 0
		.amdhsa_user_sgpr_kernarg_segment_ptr 1
		.amdhsa_user_sgpr_dispatch_id 0
		.amdhsa_user_sgpr_private_segment_size 0
		.amdhsa_wavefront_size32 1
		.amdhsa_uses_dynamic_stack 0
		.amdhsa_enable_private_segment 1
		.amdhsa_system_sgpr_workgroup_id_x 1
		.amdhsa_system_sgpr_workgroup_id_y 0
		.amdhsa_system_sgpr_workgroup_id_z 0
		.amdhsa_system_sgpr_workgroup_info 0
		.amdhsa_system_vgpr_workitem_id 0
		.amdhsa_next_free_vgpr 256
		.amdhsa_next_free_sgpr 20
		.amdhsa_reserve_vcc 1
		.amdhsa_float_round_mode_32 0
		.amdhsa_float_round_mode_16_64 0
		.amdhsa_float_denorm_mode_32 3
		.amdhsa_float_denorm_mode_16_64 3
		.amdhsa_fp16_overflow 0
		.amdhsa_workgroup_processor_mode 1
		.amdhsa_memory_ordered 1
		.amdhsa_forward_progress 0
		.amdhsa_round_robin_scheduling 0
		.amdhsa_exception_fp_ieee_invalid_op 0
		.amdhsa_exception_fp_denorm_src 0
		.amdhsa_exception_fp_ieee_div_zero 0
		.amdhsa_exception_fp_ieee_overflow 0
		.amdhsa_exception_fp_ieee_underflow 0
		.amdhsa_exception_fp_ieee_inexact 0
		.amdhsa_exception_int_div_zero 0
	.end_amdhsa_kernel
	.text
.Lfunc_end0:
	.size	bluestein_single_back_len3456_dim1_sp_op_CI_CI, .Lfunc_end0-bluestein_single_back_len3456_dim1_sp_op_CI_CI
                                        ; -- End function
	.section	.AMDGPU.csdata,"",@progbits
; Kernel info:
; codeLenInByte = 24424
; NumSgprs: 22
; NumVgprs: 256
; ScratchSize: 164
; MemoryBound: 0
; FloatMode: 240
; IeeeMode: 1
; LDSByteSize: 27648 bytes/workgroup (compile time only)
; SGPRBlocks: 2
; VGPRBlocks: 31
; NumSGPRsForWavesPerEU: 22
; NumVGPRsForWavesPerEU: 256
; Occupancy: 5
; WaveLimiterHint : 1
; COMPUTE_PGM_RSRC2:SCRATCH_EN: 1
; COMPUTE_PGM_RSRC2:USER_SGPR: 2
; COMPUTE_PGM_RSRC2:TRAP_HANDLER: 0
; COMPUTE_PGM_RSRC2:TGID_X_EN: 1
; COMPUTE_PGM_RSRC2:TGID_Y_EN: 0
; COMPUTE_PGM_RSRC2:TGID_Z_EN: 0
; COMPUTE_PGM_RSRC2:TIDIG_COMP_CNT: 0
	.text
	.p2alignl 7, 3214868480
	.fill 96, 4, 3214868480
	.type	__hip_cuid_68735533ce03a05f,@object ; @__hip_cuid_68735533ce03a05f
	.section	.bss,"aw",@nobits
	.globl	__hip_cuid_68735533ce03a05f
__hip_cuid_68735533ce03a05f:
	.byte	0                               ; 0x0
	.size	__hip_cuid_68735533ce03a05f, 1

	.ident	"AMD clang version 19.0.0git (https://github.com/RadeonOpenCompute/llvm-project roc-6.4.0 25133 c7fe45cf4b819c5991fe208aaa96edf142730f1d)"
	.section	".note.GNU-stack","",@progbits
	.addrsig
	.addrsig_sym __hip_cuid_68735533ce03a05f
	.amdgpu_metadata
---
amdhsa.kernels:
  - .args:
      - .actual_access:  read_only
        .address_space:  global
        .offset:         0
        .size:           8
        .value_kind:     global_buffer
      - .actual_access:  read_only
        .address_space:  global
        .offset:         8
        .size:           8
        .value_kind:     global_buffer
      - .actual_access:  read_only
        .address_space:  global
        .offset:         16
        .size:           8
        .value_kind:     global_buffer
      - .actual_access:  read_only
        .address_space:  global
        .offset:         24
        .size:           8
        .value_kind:     global_buffer
      - .actual_access:  read_only
        .address_space:  global
        .offset:         32
        .size:           8
        .value_kind:     global_buffer
      - .offset:         40
        .size:           8
        .value_kind:     by_value
      - .address_space:  global
        .offset:         48
        .size:           8
        .value_kind:     global_buffer
      - .address_space:  global
        .offset:         56
        .size:           8
        .value_kind:     global_buffer
      - .address_space:  global
        .offset:         64
        .size:           8
        .value_kind:     global_buffer
      - .address_space:  global
        .offset:         72
        .size:           8
        .value_kind:     global_buffer
      - .offset:         80
        .size:           4
        .value_kind:     by_value
      - .address_space:  global
        .offset:         88
        .size:           8
        .value_kind:     global_buffer
      - .address_space:  global
        .offset:         96
        .size:           8
        .value_kind:     global_buffer
    .group_segment_fixed_size: 27648
    .kernarg_segment_align: 8
    .kernarg_segment_size: 104
    .language:       OpenCL C
    .language_version:
      - 2
      - 0
    .max_flat_workgroup_size: 144
    .name:           bluestein_single_back_len3456_dim1_sp_op_CI_CI
    .private_segment_fixed_size: 164
    .sgpr_count:     22
    .sgpr_spill_count: 0
    .symbol:         bluestein_single_back_len3456_dim1_sp_op_CI_CI.kd
    .uniform_work_group_size: 1
    .uses_dynamic_stack: false
    .vgpr_count:     256
    .vgpr_spill_count: 40
    .wavefront_size: 32
    .workgroup_processor_mode: 1
amdhsa.target:   amdgcn-amd-amdhsa--gfx1201
amdhsa.version:
  - 1
  - 2
...

	.end_amdgpu_metadata
